;; amdgpu-corpus repo=zjin-lcf/HeCBench kind=compiled arch=gfx1030 opt=O3
	.amdgcn_target "amdgcn-amd-amdhsa--gfx1030"
	.amdhsa_code_object_version 6
	.text
	.protected	_Z21k_forward_rush_larsenPdddPKdi ; -- Begin function _Z21k_forward_rush_larsenPdddPKdi
	.globl	_Z21k_forward_rush_larsenPdddPKdi
	.p2align	8
	.type	_Z21k_forward_rush_larsenPdddPKdi,@function
_Z21k_forward_rush_larsenPdddPKdi:      ; @_Z21k_forward_rush_larsenPdddPKdi
; %bb.0:
	s_mov_b64 s[58:59], s[2:3]
	s_mov_b64 s[56:57], s[0:1]
	s_clause 0x1
	s_load_dword s0, s[4:5], 0x34
	s_load_dword s16, s[4:5], 0x20
	s_add_u32 s56, s56, s7
	s_addc_u32 s57, s57, 0
	s_waitcnt lgkmcnt(0)
	s_and_b32 s0, s0, 0xffff
	v_mad_u64_u32 v[0:1], null, s6, s0, v[0:1]
	s_mov_b32 s0, exec_lo
	v_cmpx_gt_i32_e64 s16, v0
	s_cbranch_execz .LBB0_86
; %bb.1:
	v_add3_u32 v8, s16, s16, v0
	s_lshl_b32 s0, s16, 1
	s_load_dwordx8 s[8:15], s[4:5], 0x0
	s_mov_b32 s2, 0xfefa39ef
	s_mov_b32 s3, 0xbfe62e42
	v_add_nc_u32_e32 v10, s16, v8
	s_mov_b32 s4, 0x3b39803f
	s_mov_b32 s5, 0xbc7abc9e
	s_mov_b32 s6, 0xfca7ab0c
	s_mov_b32 s18, 0x6a5dcb37
	v_add_nc_u32_e32 v4, s16, v10
	s_mov_b32 s7, 0x3e928af3
	s_mov_b32 s19, 0x3e5ade15
	;; [unrolled: 5-line block ×6, first 2 shown]
	s_mov_b32 s38, 0x590b2162
	s_mov_b32 s39, 0x3fb642c8
	v_add_nc_u32_e32 v22, s16, v18
	v_ashrrev_i32_e32 v9, 31, v8
	v_ashrrev_i32_e32 v11, 31, v10
	s_ashr_i32 s17, s16, 31
	v_ashrrev_i32_e32 v13, 31, v12
	v_add_nc_u32_e32 v24, s16, v22
	v_ashrrev_i32_e32 v15, 31, v14
	v_ashrrev_i32_e32 v17, 31, v16
	;; [unrolled: 1-line block ×3, first 2 shown]
	v_add_nc_u32_e32 v30, s16, v24
	v_add_nc_u32_e32 v32, s0, v30
	v_ashrrev_i32_e32 v31, 31, v30
	v_add_nc_u32_e32 v34, s0, v32
	v_ashrrev_i32_e32 v33, 31, v32
	v_ashrrev_i32_e32 v35, 31, v34
	v_mad_u64_u32 v[38:39], null, s16, -3, v[34:35]
	v_add_nc_u32_e32 v40, s0, v38
	v_ashrrev_i32_e32 v39, 31, v38
	v_add_nc_u32_e32 v5, s0, v40
	s_mov_b32 s0, 0x6db6db6e
	s_mov_b32 s1, 0xc00db6db
	v_ashrrev_i32_e32 v41, 31, v40
	v_add_nc_u32_e32 v1, s16, v5
	v_ashrrev_i32_e32 v6, 31, v5
	v_ashrrev_i32_e32 v2, 31, v1
	v_add_nc_u32_e32 v44, s16, v1
	v_lshlrev_b64 v[50:51], 3, v[5:6]
	v_lshlrev_b64 v[42:43], 3, v[1:2]
	v_ashrrev_i32_e32 v45, 31, v44
	v_lshlrev_b64 v[48:49], 3, v[44:45]
	s_waitcnt lgkmcnt(0)
	v_add_co_u32 v2, vcc_lo, s8, v42
	v_add_co_ci_u32_e64 v3, null, s9, v43, vcc_lo
	buffer_store_dword v2, off, s[56:59], 0 offset:144 ; 4-byte Folded Spill
	buffer_store_dword v3, off, s[56:59], 0 offset:148 ; 4-byte Folded Spill
	v_add_co_u32 v5, vcc_lo, s8, v48
	v_add_co_ci_u32_e64 v6, null, s9, v49, vcc_lo
	v_add_co_u32 v19, vcc_lo, s8, v50
	v_add_co_ci_u32_e64 v20, null, s9, v51, vcc_lo
	global_load_dwordx2 v[2:3], v[2:3], off
	buffer_store_dword v5, off, s[56:59], 0 offset:152 ; 4-byte Folded Spill
	buffer_store_dword v6, off, s[56:59], 0 offset:156 ; 4-byte Folded Spill
	global_load_dwordx2 v[5:6], v[5:6], off
	s_waitcnt vmcnt(1)
	v_div_scale_f64 v[36:37], vcc_lo, v[2:3], 0x401c0000, v[2:3]
	s_waitcnt vmcnt(0)
	buffer_store_dword v5, off, s[56:59], 0 offset:8 ; 4-byte Folded Spill
	buffer_store_dword v6, off, s[56:59], 0 offset:12 ; 4-byte Folded Spill
	;; [unrolled: 1-line block ×4, first 2 shown]
	global_load_dwordx2 v[5:6], v[19:20], off
	s_waitcnt vmcnt(0)
	buffer_store_dword v5, off, s[56:59], 0 offset:304 ; 4-byte Folded Spill
	buffer_store_dword v6, off, s[56:59], 0 offset:308 ; 4-byte Folded Spill
	v_div_scale_f64 v[5:6], null, 0x401c0000, 0x401c0000, v[2:3]
	v_rcp_f64_e32 v[25:26], v[5:6]
	v_fma_f64 v[27:28], -v[5:6], v[25:26], 1.0
	v_fma_f64 v[25:26], v[25:26], v[27:28], v[25:26]
	v_fma_f64 v[27:28], -v[5:6], v[25:26], 1.0
	v_fma_f64 v[25:26], v[25:26], v[27:28], v[25:26]
	v_mul_f64 v[27:28], v[36:37], v[25:26]
	v_fma_f64 v[5:6], -v[5:6], v[27:28], v[36:37]
	v_div_fmas_f64 v[5:6], v[5:6], v[25:26], v[27:28]
	v_div_fixup_f64 v[5:6], v[5:6], 0x401c0000, v[2:3]
	buffer_store_dword v5, off, s[56:59], 0 offset:184 ; 4-byte Folded Spill
	buffer_store_dword v6, off, s[56:59], 0 offset:188 ; 4-byte Folded Spill
	v_add_f64 v[5:6], -v[5:6], s[0:1]
	s_mov_b32 s0, 0x652b82fe
	s_mov_b32 s1, 0x3ff71547
	v_mul_f64 v[25:26], v[5:6], s[0:1]
	v_rndne_f64_e32 v[25:26], v[25:26]
	v_fma_f64 v[36:37], v[25:26], s[2:3], v[5:6]
	v_cvt_i32_f64_e32 v1, v[25:26]
	v_fma_f64 v[36:37], v[25:26], s[4:5], v[36:37]
	v_fma_f64 v[45:46], v[36:37], s[18:19], s[6:7]
	;; [unrolled: 1-line block ×10, first 2 shown]
	v_fma_f64 v[45:46], v[36:37], v[45:46], 1.0
	v_fma_f64 v[25:26], v[36:37], v[45:46], 1.0
	v_ldexp_f64 v[25:26], v[25:26], v1
	v_add_f64 v[25:26], v[25:26], 1.0
	v_div_scale_f64 v[36:37], null, v[25:26], v[25:26], 1.0
	v_rcp_f64_e32 v[45:46], v[36:37]
	v_fma_f64 v[52:53], -v[36:37], v[45:46], 1.0
	v_fma_f64 v[45:46], v[45:46], v[52:53], v[45:46]
	v_fma_f64 v[52:53], -v[36:37], v[45:46], 1.0
	v_fma_f64 v[45:46], v[45:46], v[52:53], v[45:46]
	v_div_scale_f64 v[52:53], vcc_lo, 1.0, v[25:26], 1.0
	v_mul_f64 v[54:55], v[52:53], v[45:46]
	v_fma_f64 v[36:37], -v[36:37], v[54:55], v[52:53]
	v_div_fmas_f64 v[36:37], v[36:37], v[45:46], v[54:55]
	v_div_scale_f64 v[45:46], null, 0x40240000, 0x40240000, v[2:3]
	v_div_fixup_f64 v[25:26], v[36:37], v[25:26], 1.0
	v_rcp_f64_e32 v[52:53], v[45:46]
	v_fma_f64 v[54:55], -v[45:46], v[52:53], 1.0
	v_fma_f64 v[52:53], v[52:53], v[54:55], v[52:53]
	v_fma_f64 v[54:55], -v[45:46], v[52:53], 1.0
	v_fma_f64 v[52:53], v[52:53], v[54:55], v[52:53]
	v_div_scale_f64 v[54:55], vcc_lo, v[2:3], 0x40240000, v[2:3]
	v_mul_f64 v[56:57], v[54:55], v[52:53]
	v_fma_f64 v[45:46], -v[45:46], v[56:57], v[54:55]
	v_div_fmas_f64 v[45:46], v[45:46], v[52:53], v[56:57]
	v_div_fixup_f64 v[19:20], v[45:46], 0x40240000, v[2:3]
	buffer_store_dword v19, off, s[56:59], 0 offset:176 ; 4-byte Folded Spill
	buffer_store_dword v20, off, s[56:59], 0 offset:180 ; 4-byte Folded Spill
	buffer_store_dword v2, off, s[56:59], 0 offset:368 ; 4-byte Folded Spill
	buffer_store_dword v3, off, s[56:59], 0 offset:372 ; 4-byte Folded Spill
	v_add_f64 v[45:46], 0xc0120000, -v[19:20]
	v_mul_f64 v[52:53], v[45:46], s[0:1]
	v_rndne_f64_e32 v[52:53], v[52:53]
	v_fma_f64 v[54:55], v[52:53], s[2:3], v[45:46]
	v_cvt_i32_f64_e32 v1, v[52:53]
	v_fma_f64 v[54:55], v[52:53], s[4:5], v[54:55]
	v_fma_f64 v[56:57], v[54:55], s[18:19], s[6:7]
	;; [unrolled: 1-line block ×10, first 2 shown]
	v_fma_f64 v[56:57], v[54:55], v[56:57], 1.0
	v_fma_f64 v[54:55], v[54:55], v[56:57], 1.0
	v_ldexp_f64 v[52:53], v[54:55], v1
	v_add_f64 v[52:53], v[52:53], 1.0
	v_div_scale_f64 v[54:55], null, v[52:53], v[52:53], 0x407c2000
	v_rcp_f64_e32 v[56:57], v[54:55]
	v_fma_f64 v[58:59], -v[54:55], v[56:57], 1.0
	v_fma_f64 v[56:57], v[56:57], v[58:59], v[56:57]
	v_fma_f64 v[58:59], -v[54:55], v[56:57], 1.0
	v_fma_f64 v[56:57], v[56:57], v[58:59], v[56:57]
	v_div_scale_f64 v[58:59], vcc_lo, 0x407c2000, v[52:53], 0x407c2000
	v_mul_f64 v[60:61], v[58:59], v[56:57]
	v_fma_f64 v[54:55], -v[54:55], v[60:61], v[58:59]
	v_div_fmas_f64 v[54:55], v[54:55], v[56:57], v[60:61]
	v_mul_f64 v[56:57], v[2:3], s[38:39]
	v_div_fixup_f64 v[36:37], v[54:55], v[52:53], 0x407c2000
	v_mul_f64 v[58:59], v[56:57], s[0:1]
	s_mov_b32 s0, 0x5e29ac20
	s_mov_b32 s1, 0x402b29a3
	v_rndne_f64_e32 v[58:59], v[58:59]
	v_fma_f64 v[60:61], v[58:59], s[2:3], v[56:57]
	v_cvt_i32_f64_e32 v1, v[58:59]
	v_cmp_nlt_f64_e64 s3, 0x40900000, v[56:57]
	v_cmp_ngt_f64_e64 s2, 0xc090cc00, v[45:46]
	v_fma_f64 v[60:61], v[58:59], s[4:5], v[60:61]
	v_cmp_ngt_f64_e64 s4, 0xc090cc00, v[56:57]
	v_fma_f64 v[62:63], v[60:61], s[18:19], s[6:7]
	v_fma_f64 v[62:63], v[60:61], v[62:63], s[20:21]
	v_fma_f64 v[62:63], v[60:61], v[62:63], s[22:23]
	v_fma_f64 v[62:63], v[60:61], v[62:63], s[24:25]
	v_fma_f64 v[62:63], v[60:61], v[62:63], s[26:27]
	v_fma_f64 v[62:63], v[60:61], v[62:63], s[28:29]
	v_fma_f64 v[62:63], v[60:61], v[62:63], s[30:31]
	v_fma_f64 v[62:63], v[60:61], v[62:63], s[34:35]
	v_fma_f64 v[62:63], v[60:61], v[62:63], s[36:37]
	v_fma_f64 v[62:63], v[60:61], v[62:63], 1.0
	v_fma_f64 v[60:61], v[60:61], v[62:63], 1.0
	v_ldexp_f64 v[58:59], v[60:61], v1
	v_fma_f64 v[58:59], v[58:59], s[0:1], 1.0
	v_cmp_ngt_f64_e64 s0, 0xc090cc00, v[5:6]
	v_cmp_nlt_f64_e64 s1, 0x40900000, v[45:46]
	v_div_scale_f64 v[60:61], null, v[58:59], v[58:59], 0x40180000
	v_rcp_f64_e32 v[62:63], v[60:61]
	v_fma_f64 v[64:65], -v[60:61], v[62:63], 1.0
	v_fma_f64 v[62:63], v[62:63], v[64:65], v[62:63]
	v_fma_f64 v[64:65], -v[60:61], v[62:63], 1.0
	v_fma_f64 v[62:63], v[62:63], v[64:65], v[62:63]
	v_div_scale_f64 v[64:65], vcc_lo, 0x40180000, v[58:59], 0x40180000
	v_mul_f64 v[66:67], v[64:65], v[62:63]
	v_fma_f64 v[60:61], -v[60:61], v[66:67], v[64:65]
	v_div_fmas_f64 v[60:61], v[60:61], v[62:63], v[66:67]
	v_cmp_nlt_f64_e32 vcc_lo, 0x40900000, v[5:6]
	v_cndmask_b32_e64 v5, 0, v37, s1
	v_cndmask_b32_e64 v6, 0x407c2000, v5, s2
	v_div_fixup_f64 v[52:53], v[60:61], v[58:59], 0x40180000
	v_cndmask_b32_e32 v1, 0, v26, vcc_lo
	s_and_b32 vcc_lo, s0, vcc_lo
	v_lshlrev_b64 v[60:61], 3, v[10:11]
	v_cndmask_b32_e64 v54, 0x3ff00000, v1, s0
	v_ashrrev_i32_e32 v1, 31, v0
	v_lshlrev_b64 v[0:1], 3, v[0:1]
	v_cndmask_b32_e64 v7, 0, v53, s3
	v_cndmask_b32_e32 v53, 0, v25, vcc_lo
	s_and_b32 vcc_lo, s2, s1
	s_lshl_b64 s[0:1], s[16:17], 3
	v_cndmask_b32_e32 v5, 0, v36, vcc_lo
	s_and_b32 vcc_lo, s4, s3
	v_lshlrev_b64 v[36:37], 3, v[8:9]
	v_cndmask_b32_e64 v26, 0x40180000, v7, s4
	v_cndmask_b32_e32 v25, 0, v52, vcc_lo
	v_add_co_u32 v19, vcc_lo, s8, v0
	v_add_co_ci_u32_e64 v20, null, s9, v1, vcc_lo
	v_mul_f64 v[8:9], v[5:6], v[25:26]
	v_add_co_u32 v5, vcc_lo, s8, v36
	v_add_co_ci_u32_e64 v6, null, s9, v37, vcc_lo
	v_add_co_u32 v2, vcc_lo, s8, v60
	v_add_co_ci_u32_e64 v3, null, s9, v61, vcc_lo
	;; [unrolled: 2-line block ×3, first 2 shown]
	buffer_store_dword v19, off, s[56:59], 0 offset:408 ; 4-byte Folded Spill
	buffer_store_dword v20, off, s[56:59], 0 offset:412 ; 4-byte Folded Spill
	v_ashrrev_i32_e32 v25, 31, v24
	global_load_dwordx2 v[28:29], v[19:20], off
	buffer_store_dword v10, off, s[56:59], 0 offset:400 ; 4-byte Folded Spill
	buffer_store_dword v11, off, s[56:59], 0 offset:404 ; 4-byte Folded Spill
	global_load_dwordx2 v[19:20], v[10:11], off
	s_waitcnt vmcnt(0)
	buffer_store_dword v19, off, s[56:59], 0 offset:64 ; 4-byte Folded Spill
	buffer_store_dword v20, off, s[56:59], 0 offset:68 ; 4-byte Folded Spill
	;; [unrolled: 1-line block ×4, first 2 shown]
	global_load_dwordx2 v[19:20], v[5:6], off
	v_ashrrev_i32_e32 v5, 31, v4
	s_waitcnt vmcnt(0)
	buffer_store_dword v19, off, s[56:59], 0 offset:48 ; 4-byte Folded Spill
	buffer_store_dword v20, off, s[56:59], 0 offset:52 ; 4-byte Folded Spill
	;; [unrolled: 1-line block ×4, first 2 shown]
	global_load_dwordx2 v[19:20], v[2:3], off
	s_waitcnt vmcnt(0)
	buffer_store_dword v19, off, s[56:59], 0 offset:56 ; 4-byte Folded Spill
	buffer_store_dword v20, off, s[56:59], 0 offset:60 ; 4-byte Folded Spill
	buffer_store_dword v28, off, s[56:59], 0 offset:88 ; 4-byte Folded Spill
	buffer_store_dword v29, off, s[56:59], 0 offset:92 ; 4-byte Folded Spill
	v_ashrrev_i32_e32 v19, 31, v18
	v_add_f64 v[52:53], v[53:54], -v[28:29]
	v_div_scale_f64 v[54:55], null, v[8:9], v[8:9], v[52:53]
	v_rcp_f64_e32 v[56:57], v[54:55]
	v_fma_f64 v[58:59], -v[54:55], v[56:57], 1.0
	v_fma_f64 v[56:57], v[56:57], v[58:59], v[56:57]
	v_fma_f64 v[58:59], -v[54:55], v[56:57], 1.0
	v_fma_f64 v[56:57], v[56:57], v[58:59], v[56:57]
	v_div_scale_f64 v[58:59], vcc_lo, v[52:53], v[8:9], v[52:53]
	v_mul_f64 v[62:63], v[58:59], v[56:57]
	v_fma_f64 v[54:55], -v[54:55], v[62:63], v[58:59]
	v_div_fmas_f64 v[2:3], v[54:55], v[56:57], v[62:63]
	v_div_scale_f64 v[56:57], null, v[8:9], v[8:9], -1.0
	buffer_store_dword v2, off, s[56:59], 0 ; 4-byte Folded Spill
	buffer_store_dword v3, off, s[56:59], 0 offset:4 ; 4-byte Folded Spill
	v_rcp_f64_e32 v[58:59], v[56:57]
	v_fma_f64 v[62:63], -v[56:57], v[58:59], 1.0
	v_fma_f64 v[58:59], v[58:59], v[62:63], v[58:59]
	v_fma_f64 v[62:63], -v[56:57], v[58:59], 1.0
	v_fma_f64 v[58:59], v[58:59], v[62:63], v[58:59]
	v_div_scale_f64 v[62:63], vcc_lo, -1.0, v[8:9], -1.0
	v_mul_f64 v[64:65], v[62:63], v[58:59]
	v_fma_f64 v[56:57], -v[56:57], v[64:65], v[62:63]
	v_div_fmas_f64 v[54:55], v[56:57], v[58:59], v[64:65]
	v_add_co_u32 v56, vcc_lo, s14, v0
	v_add_co_ci_u32_e64 v57, null, s15, v1, vcc_lo
	v_lshlrev_b64 v[0:1], 3, v[4:5]
	v_add_co_u32 v58, vcc_lo, s14, v36
	v_add_co_ci_u32_e64 v59, null, s15, v37, vcc_lo
	v_add_co_u32 v60, vcc_lo, s14, v60
	v_add_co_ci_u32_e64 v61, null, s15, v61, vcc_lo
	;; [unrolled: 2-line block ×4, first 2 shown]
	v_lshlrev_b64 v[0:1], 3, v[12:13]
	v_lshlrev_b64 v[12:13], 3, v[14:15]
	buffer_store_dword v2, off, s[56:59], 0 offset:432 ; 4-byte Folded Spill
	buffer_store_dword v3, off, s[56:59], 0 offset:436 ; 4-byte Folded Spill
	v_add_co_u32 v2, vcc_lo, s8, v0
	v_add_co_ci_u32_e64 v3, null, s9, v1, vcc_lo
	v_add_co_u32 v70, vcc_lo, s14, v0
	v_add_co_ci_u32_e64 v71, null, s15, v1, vcc_lo
	;; [unrolled: 2-line block ×4, first 2 shown]
	v_lshlrev_b64 v[12:13], 3, v[16:17]
	buffer_store_dword v2, off, s[56:59], 0 offset:416 ; 4-byte Folded Spill
	buffer_store_dword v3, off, s[56:59], 0 offset:420 ; 4-byte Folded Spill
	buffer_store_dword v0, off, s[56:59], 0 offset:440 ; 4-byte Folded Spill
	buffer_store_dword v1, off, s[56:59], 0 offset:444 ; 4-byte Folded Spill
	v_add_co_u32 v0, vcc_lo, s8, v12
	v_add_co_ci_u32_e64 v1, null, s9, v13, vcc_lo
	v_add_co_u32 v16, vcc_lo, s14, v12
	v_add_co_ci_u32_e64 v17, null, s15, v13, vcc_lo
	v_lshlrev_b64 v[12:13], 3, v[18:19]
	buffer_store_dword v0, off, s[56:59], 0 offset:424 ; 4-byte Folded Spill
	buffer_store_dword v1, off, s[56:59], 0 offset:428 ; 4-byte Folded Spill
	v_add_co_u32 v62, vcc_lo, s8, v12
	v_add_co_ci_u32_e64 v63, null, s9, v13, vcc_lo
	v_add_co_u32 v18, vcc_lo, s14, v12
	v_add_co_ci_u32_e64 v19, null, s15, v13, vcc_lo
	v_lshlrev_b64 v[12:13], 3, v[22:23]
	v_add_co_u32 v6, vcc_lo, s8, v12
	v_add_co_ci_u32_e64 v7, null, s9, v13, vcc_lo
	v_add_co_u32 v22, vcc_lo, s14, v12
	v_add_co_ci_u32_e64 v23, null, s15, v13, vcc_lo
	v_lshlrev_b64 v[12:13], 3, v[24:25]
	v_add_co_u32 v46, vcc_lo, s8, v12
	v_add_co_ci_u32_e64 v47, null, s9, v13, vcc_lo
	v_add_co_u32 v24, vcc_lo, s14, v12
	v_add_co_ci_u32_e64 v25, null, s15, v13, vcc_lo
	v_lshlrev_b64 v[12:13], 3, v[30:31]
	v_add_co_u32 v2, vcc_lo, s8, v12
	v_add_co_ci_u32_e64 v3, null, s9, v13, vcc_lo
	v_add_co_u32 v30, vcc_lo, s14, v12
	v_add_co_ci_u32_e64 v31, null, s15, v13, vcc_lo
	v_lshlrev_b64 v[12:13], 3, v[32:33]
	v_add_co_u32 v26, vcc_lo, s8, v12
	v_add_co_ci_u32_e64 v27, null, s9, v13, vcc_lo
	v_add_co_u32 v32, vcc_lo, s14, v12
	v_add_co_ci_u32_e64 v33, null, s15, v13, vcc_lo
	v_lshlrev_b64 v[12:13], 3, v[34:35]
	v_add_co_u32 v10, vcc_lo, s8, v12
	v_add_co_ci_u32_e64 v11, null, s9, v13, vcc_lo
	v_add_co_u32 v34, vcc_lo, s14, v12
	v_add_co_ci_u32_e64 v35, null, s15, v13, vcc_lo
	v_lshlrev_b64 v[12:13], 3, v[38:39]
	v_add_co_u32 v78, vcc_lo, s8, v12
	v_add_co_ci_u32_e64 v79, null, s9, v13, vcc_lo
	v_add_co_u32 v38, vcc_lo, s14, v12
	v_add_co_ci_u32_e64 v39, null, s15, v13, vcc_lo
	v_lshlrev_b64 v[12:13], 3, v[40:41]
	v_add_co_u32 v4, vcc_lo, s8, v12
	v_add_co_ci_u32_e64 v5, null, s9, v13, vcc_lo
	v_add_co_u32 v40, vcc_lo, s14, v12
	v_add_nc_u32_e32 v12, s16, v44
	v_add_co_ci_u32_e64 v41, null, s15, v13, vcc_lo
	v_add_co_u32 v50, vcc_lo, s14, v50
	v_ashrrev_i32_e32 v13, 31, v12
	v_add_co_ci_u32_e64 v51, null, s15, v51, vcc_lo
	v_add_co_u32 v42, vcc_lo, s14, v42
	v_lshlrev_b64 v[44:45], 3, v[12:13]
	v_add_nc_u32_e32 v12, s16, v12
	v_add_co_ci_u32_e64 v43, null, s15, v43, vcc_lo
	v_add_co_u32 v48, vcc_lo, s14, v48
	v_ashrrev_i32_e32 v13, 31, v12
	v_add_co_ci_u32_e64 v49, null, s15, v49, vcc_lo
	v_add_co_u32 v44, vcc_lo, s14, v44
	v_lshlrev_b64 v[74:75], 3, v[12:13]
	v_add_nc_u32_e32 v12, s16, v12
	v_add_co_ci_u32_e64 v45, null, s15, v45, vcc_lo
	v_ashrrev_i32_e32 v13, 31, v12
	v_add_co_u32 v74, vcc_lo, s14, v74
	v_add_co_ci_u32_e64 v75, null, s15, v75, vcc_lo
	v_lshlrev_b64 v[76:77], 3, v[12:13]
	v_add_nc_u32_e32 v12, s16, v12
	v_ashrrev_i32_e32 v13, 31, v12
	v_add_co_u32 v76, vcc_lo, s14, v76
	v_add_co_ci_u32_e64 v77, null, s15, v77, vcc_lo
	v_lshlrev_b64 v[82:83], 3, v[12:13]
	v_add_nc_u32_e32 v12, s16, v12
	;; [unrolled: 5-line block ×31, first 2 shown]
	v_ashrrev_i32_e32 v13, 31, v12
	v_add_co_u32 v0, vcc_lo, s14, v90
	v_add_co_ci_u32_e64 v1, null, s15, v91, vcc_lo
	v_lshlrev_b64 v[12:13], 3, v[12:13]
	v_add_co_u32 v90, vcc_lo, s14, v12
	v_add_co_ci_u32_e64 v91, null, s15, v13, vcc_lo
	s_clause 0x1
	buffer_load_dword v12, off, s[56:59], 0
	buffer_load_dword v13, off, s[56:59], 0 offset:4
	s_waitcnt vmcnt(0)
	v_div_fixup_f64 v[12:13], v[12:13], v[8:9], v[52:53]
	v_div_fixup_f64 v[8:9], v[54:55], v[8:9], -1.0
	global_load_dwordx2 v[54:55], v[56:57], off
	v_add_co_u32 v52, vcc_lo, v56, s0
	v_add_co_ci_u32_e64 v53, null, s1, v57, vcc_lo
	s_mov_b32 s0, 0xe2308c3a
	s_mov_b32 s1, 0x3e45798e
	s_waitcnt vmcnt(0)
	buffer_store_dword v54, off, s[56:59], 0 offset:256 ; 4-byte Folded Spill
	buffer_store_dword v55, off, s[56:59], 0 offset:260 ; 4-byte Folded Spill
	global_load_dwordx2 v[52:53], v[52:53], off
	v_cmp_ngt_f64_e64 s0, |v[8:9]|, s[0:1]
	s_waitcnt vmcnt(0)
	buffer_store_dword v52, off, s[56:59], 0 offset:248 ; 4-byte Folded Spill
	buffer_store_dword v53, off, s[56:59], 0 offset:252 ; 4-byte Folded Spill
	global_load_dwordx2 v[52:53], v[58:59], off
	s_waitcnt vmcnt(0)
	buffer_store_dword v52, off, s[56:59], 0 offset:240 ; 4-byte Folded Spill
	buffer_store_dword v53, off, s[56:59], 0 offset:244 ; 4-byte Folded Spill
	global_load_dwordx2 v[52:53], v[60:61], off
	;; [unrolled: 4-line block ×6, first 2 shown]
                                        ; implicit-def: $vgpr16_vgpr17
	s_waitcnt vmcnt(0)
	buffer_store_dword v14, off, s[56:59], 0 offset:80 ; 4-byte Folded Spill
	buffer_store_dword v15, off, s[56:59], 0 offset:84 ; 4-byte Folded Spill
	global_load_dwordx2 v[14:15], v[18:19], off
	s_waitcnt vmcnt(0)
	buffer_store_dword v14, off, s[56:59], 0 offset:192 ; 4-byte Folded Spill
	buffer_store_dword v15, off, s[56:59], 0 offset:196 ; 4-byte Folded Spill
	global_load_dwordx2 v[14:15], v[22:23], off
	s_waitcnt vmcnt(0)
	buffer_store_dword v14, off, s[56:59], 0 offset:272 ; 4-byte Folded Spill
	buffer_store_dword v15, off, s[56:59], 0 offset:276 ; 4-byte Folded Spill
	global_load_dwordx2 v[14:15], v[24:25], off
	s_waitcnt vmcnt(0)
	buffer_store_dword v14, off, s[56:59], 0 offset:280 ; 4-byte Folded Spill
	buffer_store_dword v15, off, s[56:59], 0 offset:284 ; 4-byte Folded Spill
	global_load_dwordx2 v[14:15], v[30:31], off
	s_waitcnt vmcnt(0)
	buffer_store_dword v14, off, s[56:59], 0 offset:288 ; 4-byte Folded Spill
	buffer_store_dword v15, off, s[56:59], 0 offset:292 ; 4-byte Folded Spill
	global_load_dwordx2 v[14:15], v[38:39], off
	s_waitcnt vmcnt(0)
	buffer_store_dword v14, off, s[56:59], 0 offset:24 ; 4-byte Folded Spill
	buffer_store_dword v15, off, s[56:59], 0 offset:28 ; 4-byte Folded Spill
	s_clause 0x1
	global_load_dwordx2 v[32:33], v[32:33], off
	global_load_dwordx2 v[14:15], v[40:41], off
	s_waitcnt vmcnt(0)
	buffer_store_dword v14, off, s[56:59], 0 offset:360 ; 4-byte Folded Spill
	buffer_store_dword v15, off, s[56:59], 0 offset:364 ; 4-byte Folded Spill
	s_clause 0x1
	global_load_dwordx2 v[30:31], v[34:35], off
	global_load_dwordx2 v[14:15], v[50:51], off
	;; [unrolled: 6-line block ×5, first 2 shown]
	s_waitcnt vmcnt(0)
	buffer_store_dword v14, off, s[56:59], 0 offset:112 ; 4-byte Folded Spill
	buffer_store_dword v15, off, s[56:59], 0 offset:116 ; 4-byte Folded Spill
	global_load_dwordx2 v[14:15], v[88:89], off
	s_waitcnt vmcnt(0)
	buffer_store_dword v14, off, s[56:59], 0 offset:312 ; 4-byte Folded Spill
	buffer_store_dword v15, off, s[56:59], 0 offset:316 ; 4-byte Folded Spill
	global_load_dwordx2 v[14:15], v[92:93], off
	;; [unrolled: 4-line block ×3, first 2 shown]
	s_clause 0x1
	buffer_load_dword v94, off, s[56:59], 0 offset:432
	buffer_load_dword v95, off, s[56:59], 0 offset:436
	s_waitcnt vmcnt(2)
	buffer_store_dword v14, off, s[56:59], 0 offset:336 ; 4-byte Folded Spill
	buffer_store_dword v15, off, s[56:59], 0 offset:340 ; 4-byte Folded Spill
	s_clause 0x5
	global_load_dwordx2 v[64:65], v[96:97], off
	global_load_dwordx2 v[50:51], v[100:101], off
	;; [unrolled: 1-line block ×6, first 2 shown]
	s_waitcnt vmcnt(0)
	buffer_store_dword v14, off, s[56:59], 0 offset:376 ; 4-byte Folded Spill
	buffer_store_dword v15, off, s[56:59], 0 offset:380 ; 4-byte Folded Spill
	s_clause 0x4
	global_load_dwordx2 v[104:105], v[118:119], off
	global_load_dwordx2 v[100:101], v[122:123], off
	;; [unrolled: 1-line block ×5, first 2 shown]
	s_clause 0x1
	buffer_load_dword v84, off, s[56:59], 0 offset:440
	buffer_load_dword v85, off, s[56:59], 0 offset:444
	global_load_dwordx2 v[14:15], v[86:87], off
	s_clause 0x1
	buffer_load_dword v86, off, s[56:59], 0 offset:416
	buffer_load_dword v87, off, s[56:59], 0 offset:420
	s_waitcnt vmcnt(2)
	buffer_store_dword v14, off, s[56:59], 0 offset:320 ; 4-byte Folded Spill
	buffer_store_dword v15, off, s[56:59], 0 offset:324 ; 4-byte Folded Spill
	global_load_dwordx2 v[14:15], v[126:127], off
	v_mov_b32_e32 v127, v27
	v_mov_b32_e32 v126, v26
	s_waitcnt vmcnt(0)
	buffer_store_dword v14, off, s[56:59], 0 offset:120 ; 4-byte Folded Spill
	buffer_store_dword v15, off, s[56:59], 0 offset:124 ; 4-byte Folded Spill
	global_load_dwordx2 v[14:15], v[106:107], off
	s_waitcnt vmcnt(0)
	buffer_store_dword v14, off, s[56:59], 0 offset:128 ; 4-byte Folded Spill
	buffer_store_dword v15, off, s[56:59], 0 offset:132 ; 4-byte Folded Spill
	global_load_dwordx2 v[14:15], v[116:117], off
	s_waitcnt vmcnt(0)
	buffer_store_dword v14, off, s[56:59], 0 offset:328 ; 4-byte Folded Spill
	buffer_store_dword v15, off, s[56:59], 0 offset:332 ; 4-byte Folded Spill
	global_load_dwordx2 v[14:15], v[120:121], off
	v_mov_b32_e32 v121, v11
	v_mov_b32_e32 v120, v10
	s_waitcnt vmcnt(0)
	buffer_store_dword v14, off, s[56:59], 0 offset:344 ; 4-byte Folded Spill
	buffer_store_dword v15, off, s[56:59], 0 offset:348 ; 4-byte Folded Spill
	s_clause 0x1
	global_load_dwordx2 v[82:83], v[66:67], off
	global_load_dwordx2 v[14:15], v[98:99], off
	v_mov_b32_e32 v67, v47
	v_mov_b32_e32 v66, v46
	;; [unrolled: 1-line block ×4, first 2 shown]
	s_waitcnt vmcnt(0)
	buffer_store_dword v14, off, s[56:59], 0 ; 4-byte Folded Spill
	buffer_store_dword v15, off, s[56:59], 0 offset:4 ; 4-byte Folded Spill
	global_load_dwordx2 v[18:19], v[80:81], off
	s_clause 0x1
	buffer_load_dword v80, off, s[56:59], 0 offset:424
	buffer_load_dword v81, off, s[56:59], 0 offset:428
	global_load_dwordx2 v[14:15], v[28:29], off
	s_waitcnt vmcnt(0)
	buffer_store_dword v14, off, s[56:59], 0 offset:32 ; 4-byte Folded Spill
	buffer_store_dword v15, off, s[56:59], 0 offset:36 ; 4-byte Folded Spill
	global_load_dwordx2 v[14:15], v[68:69], off
	v_mov_b32_e32 v69, v63
	v_mov_b32_e32 v68, v62
	s_waitcnt vmcnt(0)
	buffer_store_dword v14, off, s[56:59], 0 offset:40 ; 4-byte Folded Spill
	buffer_store_dword v15, off, s[56:59], 0 offset:44 ; 4-byte Folded Spill
	s_clause 0x1
	global_load_dwordx2 v[92:93], v[72:73], off
	global_load_dwordx2 v[14:15], v[108:109], off
	s_waitcnt vmcnt(0)
	buffer_store_dword v14, off, s[56:59], 0 offset:208 ; 4-byte Folded Spill
	buffer_store_dword v15, off, s[56:59], 0 offset:212 ; 4-byte Folded Spill
	global_load_dwordx2 v[14:15], v[20:21], off
	s_waitcnt vmcnt(0)
	buffer_store_dword v14, off, s[56:59], 0 offset:216 ; 4-byte Folded Spill
	buffer_store_dword v15, off, s[56:59], 0 offset:220 ; 4-byte Folded Spill
	global_load_dwordx2 v[14:15], v[36:37], off
	v_mov_b32_e32 v37, v3
	v_mov_b32_e32 v36, v2
	s_waitcnt vmcnt(0)
	buffer_store_dword v14, off, s[56:59], 0 offset:232 ; 4-byte Folded Spill
	buffer_store_dword v15, off, s[56:59], 0 offset:236 ; 4-byte Folded Spill
	global_load_dwordx2 v[0:1], v[0:1], off
	s_waitcnt vmcnt(0)
	buffer_store_dword v0, off, s[56:59], 0 offset:224 ; 4-byte Folded Spill
	buffer_store_dword v1, off, s[56:59], 0 offset:228 ; 4-byte Folded Spill
	global_load_dwordx2 v[76:77], v[90:91], off
	s_clause 0x9
	global_load_dwordx2 v[88:89], v[94:95], off
	global_load_dwordx2 v[14:15], v[86:87], off
	;; [unrolled: 1-line block ×10, first 2 shown]
	buffer_store_dword v78, off, s[56:59], 0 offset:296 ; 4-byte Folded Spill
	buffer_store_dword v79, off, s[56:59], 0 offset:300 ; 4-byte Folded Spill
	global_load_dwordx2 v[114:115], v[78:79], off
	buffer_store_dword v4, off, s[56:59], 0 offset:200 ; 4-byte Folded Spill
	buffer_store_dword v5, off, s[56:59], 0 offset:204 ; 4-byte Folded Spill
	global_load_dwordx2 v[58:59], v[4:5], off
	s_and_saveexec_b32 s1, s0
	s_xor_b32 s0, exec_lo, s1
; %bb.2:
	v_mul_f64 v[16:17], s[12:13], v[12:13]
                                        ; implicit-def: $vgpr8_vgpr9
                                        ; implicit-def: $vgpr12_vgpr13
; %bb.3:
	s_andn2_saveexec_b32 s1, s0
	s_cbranch_execz .LBB0_5
; %bb.4:
	v_mul_f64 v[0:1], s[12:13], v[8:9]
	s_mov_b32 s2, 0x652b82fe
	s_mov_b32 s3, 0x3ff71547
	s_mov_b32 s4, 0x6a5dcb37
	s_mov_b32 s5, 0x3e5ade15
	v_mul_f64 v[16:17], v[0:1], s[2:3]
	s_mov_b32 s2, 0xfefa39ef
	s_mov_b32 s3, 0xbfe62e42
	v_cmp_nlt_f64_e32 vcc_lo, 0x40900000, v[0:1]
	v_cmp_ngt_f64_e64 s0, 0xc090cc00, v[0:1]
	v_rndne_f64_e32 v[16:17], v[16:17]
	v_fma_f64 v[20:21], v[16:17], s[2:3], v[0:1]
	s_mov_b32 s2, 0x3b39803f
	s_mov_b32 s3, 0xbc7abc9e
	v_cvt_i32_f64_e32 v28, v[16:17]
	v_fma_f64 v[20:21], v[16:17], s[2:3], v[20:21]
	s_mov_b32 s2, 0xfca7ab0c
	s_mov_b32 s3, 0x3e928af3
	v_fma_f64 v[24:25], v[20:21], s[4:5], s[2:3]
	s_mov_b32 s2, 0x623fde64
	s_mov_b32 s3, 0x3ec71dee
	;; [unrolled: 3-line block ×9, first 2 shown]
	v_fma_f64 v[24:25], v[20:21], v[24:25], s[2:3]
	v_fma_f64 v[24:25], v[20:21], v[24:25], 1.0
	v_fma_f64 v[16:17], v[20:21], v[24:25], 1.0
	v_ldexp_f64 v[16:17], v[16:17], v28
	v_add_f64 v[16:17], v[16:17], -1.0
	v_cndmask_b32_e32 v17, 0x7ff00000, v17, vcc_lo
	s_and_b32 vcc_lo, s0, vcc_lo
	v_cndmask_b32_e32 v0, 0, v16, vcc_lo
	v_cndmask_b32_e64 v1, 0xbff00000, v17, s0
	v_mul_f64 v[0:1], v[12:13], v[0:1]
	v_div_scale_f64 v[12:13], null, v[8:9], v[8:9], v[0:1]
	v_rcp_f64_e32 v[16:17], v[12:13]
	v_fma_f64 v[20:21], -v[12:13], v[16:17], 1.0
	v_fma_f64 v[16:17], v[16:17], v[20:21], v[16:17]
	v_fma_f64 v[20:21], -v[12:13], v[16:17], 1.0
	v_fma_f64 v[16:17], v[16:17], v[20:21], v[16:17]
	v_div_scale_f64 v[20:21], vcc_lo, v[0:1], v[8:9], v[0:1]
	v_mul_f64 v[24:25], v[20:21], v[16:17]
	v_fma_f64 v[12:13], -v[12:13], v[24:25], v[20:21]
	v_div_fmas_f64 v[12:13], v[12:13], v[16:17], v[24:25]
	v_div_fixup_f64 v[16:17], v[12:13], v[8:9], v[0:1]
.LBB0_5:
	s_or_b32 exec_lo, exec_lo, s1
	s_clause 0x3
	buffer_load_dword v0, off, s[56:59], 0 offset:88
	buffer_load_dword v1, off, s[56:59], 0 offset:92
	;; [unrolled: 1-line block ×4, first 2 shown]
	s_mov_b32 s0, 0x55555555
	s_mov_b32 s1, 0x400d5555
	;; [unrolled: 1-line block ×28, first 2 shown]
	s_waitcnt vmcnt(2)
	v_add_f64 v[0:1], v[0:1], v[16:17]
	s_waitcnt vmcnt(0)
	global_store_dwordx2 v[2:3], v[0:1], off
	s_clause 0x1
	buffer_load_dword v2, off, s[56:59], 0 offset:368
	buffer_load_dword v3, off, s[56:59], 0 offset:372
	s_waitcnt vmcnt(0)
	v_div_scale_f64 v[0:1], null, 0x40380000, 0x40380000, v[2:3]
	v_rcp_f64_e32 v[6:7], v[0:1]
	v_fma_f64 v[8:9], -v[0:1], v[6:7], 1.0
	v_fma_f64 v[6:7], v[6:7], v[8:9], v[6:7]
	v_fma_f64 v[8:9], -v[0:1], v[6:7], 1.0
	v_fma_f64 v[6:7], v[6:7], v[8:9], v[6:7]
	v_div_scale_f64 v[8:9], vcc_lo, v[2:3], 0x40380000, v[2:3]
	v_mul_f64 v[12:13], v[8:9], v[6:7]
	v_fma_f64 v[0:1], -v[0:1], v[12:13], v[8:9]
	v_div_fmas_f64 v[0:1], v[0:1], v[6:7], v[12:13]
	v_div_fixup_f64 v[0:1], v[0:1], 0x40380000, v[2:3]
	v_add_f64 v[0:1], v[0:1], s[0:1]
	v_mul_f64 v[6:7], v[0:1], s[4:5]
	v_cmp_ngt_f64_e64 s0, 0xc090cc00, v[0:1]
	v_rndne_f64_e32 v[6:7], v[6:7]
	v_fma_f64 v[8:9], v[6:7], s[2:3], v[0:1]
	v_fma_f64 v[8:9], v[6:7], s[6:7], v[8:9]
	v_cvt_i32_f64_e32 v6, v[6:7]
	v_fma_f64 v[12:13], v[8:9], s[14:15], s[8:9]
	v_fma_f64 v[12:13], v[8:9], v[12:13], s[16:17]
	;; [unrolled: 1-line block ×9, first 2 shown]
	v_fma_f64 v[12:13], v[8:9], v[12:13], 1.0
	v_fma_f64 v[8:9], v[8:9], v[12:13], 1.0
	v_ldexp_f64 v[6:7], v[8:9], v6
	v_add_f64 v[6:7], v[6:7], 1.0
	v_div_scale_f64 v[8:9], null, v[6:7], v[6:7], 1.0
	v_rcp_f64_e32 v[12:13], v[8:9]
	v_fma_f64 v[16:17], -v[8:9], v[12:13], 1.0
	v_fma_f64 v[12:13], v[12:13], v[16:17], v[12:13]
	v_fma_f64 v[16:17], -v[8:9], v[12:13], 1.0
	v_fma_f64 v[12:13], v[12:13], v[16:17], v[12:13]
	v_div_scale_f64 v[16:17], vcc_lo, 1.0, v[6:7], 1.0
	v_mul_f64 v[20:21], v[16:17], v[12:13]
	v_fma_f64 v[8:9], -v[8:9], v[20:21], v[16:17]
	v_div_fmas_f64 v[8:9], v[8:9], v[12:13], v[20:21]
	v_cmp_nlt_f64_e32 vcc_lo, 0x40900000, v[0:1]
	v_div_scale_f64 v[0:1], null, 0x40340000, 0x40340000, v[2:3]
	v_div_fixup_f64 v[6:7], v[8:9], v[6:7], 1.0
	v_rcp_f64_e32 v[8:9], v[0:1]
	v_cndmask_b32_e32 v7, 0, v7, vcc_lo
	s_and_b32 vcc_lo, s0, vcc_lo
	v_cndmask_b32_e32 v6, 0, v6, vcc_lo
	v_fma_f64 v[12:13], -v[0:1], v[8:9], 1.0
	v_cndmask_b32_e64 v7, 0x3ff00000, v7, s0
	v_fma_f64 v[8:9], v[8:9], v[12:13], v[8:9]
	v_fma_f64 v[12:13], -v[0:1], v[8:9], 1.0
	v_fma_f64 v[8:9], v[8:9], v[12:13], v[8:9]
	v_div_scale_f64 v[12:13], vcc_lo, v[2:3], 0x40340000, v[2:3]
	v_mul_f64 v[16:17], v[12:13], v[8:9]
	v_fma_f64 v[0:1], -v[0:1], v[16:17], v[12:13]
	v_div_fmas_f64 v[0:1], v[0:1], v[8:9], v[16:17]
	v_div_fixup_f64 v[74:75], v[0:1], 0x40340000, v[2:3]
	v_add_f64 v[0:1], 0xc0080000, -v[74:75]
	v_mul_f64 v[8:9], v[0:1], s[4:5]
	v_cmp_ngt_f64_e64 s0, 0xc090cc00, v[0:1]
	v_rndne_f64_e32 v[8:9], v[8:9]
	v_fma_f64 v[12:13], v[8:9], s[2:3], v[0:1]
	v_fma_f64 v[12:13], v[8:9], s[6:7], v[12:13]
	v_cvt_i32_f64_e32 v8, v[8:9]
	v_fma_f64 v[16:17], v[12:13], s[14:15], s[8:9]
	v_fma_f64 v[16:17], v[12:13], v[16:17], s[16:17]
	;; [unrolled: 1-line block ×9, first 2 shown]
	v_fma_f64 v[16:17], v[12:13], v[16:17], 1.0
	v_fma_f64 v[12:13], v[12:13], v[16:17], 1.0
	v_ldexp_f64 v[8:9], v[12:13], v8
	v_add_f64 v[8:9], v[8:9], 1.0
	v_div_scale_f64 v[12:13], null, v[8:9], v[8:9], 0x40080000
	v_rcp_f64_e32 v[16:17], v[12:13]
	v_fma_f64 v[20:21], -v[12:13], v[16:17], 1.0
	v_fma_f64 v[16:17], v[16:17], v[20:21], v[16:17]
	v_fma_f64 v[20:21], -v[12:13], v[16:17], 1.0
	v_fma_f64 v[16:17], v[16:17], v[20:21], v[16:17]
	v_div_scale_f64 v[20:21], vcc_lo, 0x40080000, v[8:9], 0x40080000
	v_mul_f64 v[24:25], v[20:21], v[16:17]
	v_fma_f64 v[12:13], -v[12:13], v[24:25], v[20:21]
	v_div_fmas_f64 v[12:13], v[12:13], v[16:17], v[24:25]
	v_cmp_nlt_f64_e32 vcc_lo, 0x40900000, v[0:1]
	v_add_f64 v[0:1], 0xc0080000, v[74:75]
	v_div_fixup_f64 v[8:9], v[12:13], v[8:9], 0x40080000
	v_mul_f64 v[12:13], v[0:1], s[4:5]
	v_cndmask_b32_e32 v9, 0, v9, vcc_lo
	s_and_b32 vcc_lo, s0, vcc_lo
	v_rndne_f64_e32 v[12:13], v[12:13]
	v_cndmask_b32_e32 v8, 0, v8, vcc_lo
	v_cndmask_b32_e64 v9, 0x40080000, v9, s0
	s_mov_b32 s0, 0x1eb851ec
	s_mov_b32 s1, 0x3ff1eb85
	v_fma_f64 v[16:17], v[12:13], s[2:3], v[0:1]
	v_fma_f64 v[16:17], v[12:13], s[6:7], v[16:17]
	v_cvt_i32_f64_e32 v12, v[12:13]
	v_fma_f64 v[20:21], v[16:17], s[14:15], s[8:9]
	v_fma_f64 v[20:21], v[16:17], v[20:21], s[16:17]
	;; [unrolled: 1-line block ×9, first 2 shown]
	v_fma_f64 v[20:21], v[16:17], v[20:21], 1.0
	v_fma_f64 v[16:17], v[16:17], v[20:21], 1.0
	v_ldexp_f64 v[12:13], v[16:17], v12
	v_add_f64 v[12:13], v[12:13], 1.0
	v_div_scale_f64 v[16:17], null, v[12:13], v[12:13], s[0:1]
	v_rcp_f64_e32 v[20:21], v[16:17]
	v_fma_f64 v[24:25], -v[16:17], v[20:21], 1.0
	v_fma_f64 v[20:21], v[20:21], v[24:25], v[20:21]
	v_fma_f64 v[24:25], -v[16:17], v[20:21], 1.0
	v_fma_f64 v[20:21], v[20:21], v[24:25], v[20:21]
	v_div_scale_f64 v[24:25], vcc_lo, s[0:1], v[12:13], s[0:1]
	v_mul_f64 v[28:29], v[24:25], v[20:21]
	v_fma_f64 v[16:17], -v[16:17], v[28:29], v[24:25]
	v_div_fmas_f64 v[16:17], v[16:17], v[20:21], v[28:29]
	s_clause 0x1
	buffer_load_dword v28, off, s[56:59], 0 offset:64
	buffer_load_dword v29, off, s[56:59], 0 offset:68
	v_cmp_nlt_f64_e32 vcc_lo, 0x40900000, v[0:1]
	v_div_fixup_f64 v[12:13], v[16:17], v[12:13], s[0:1]
	s_mov_b32 s0, 0xe2308c3a
	s_mov_b32 s1, 0x3e45798e
	v_cndmask_b32_e32 v12, 0, v12, vcc_lo
	v_cndmask_b32_e32 v13, 0, v13, vcc_lo
	v_cmp_ngt_f64_e32 vcc_lo, 0xc090cc00, v[0:1]
	v_cndmask_b32_e32 v1, 0x3ff1eb85, v13, vcc_lo
	v_cndmask_b32_e32 v0, 0x1eb851ec, v12, vcc_lo
	v_mul_f64 v[0:1], v[8:9], v[0:1]
	s_waitcnt vmcnt(0)
	v_add_f64 v[6:7], v[6:7], -v[28:29]
	v_div_scale_f64 v[8:9], null, v[0:1], v[0:1], v[6:7]
	v_rcp_f64_e32 v[12:13], v[8:9]
	v_fma_f64 v[16:17], -v[8:9], v[12:13], 1.0
	v_fma_f64 v[12:13], v[12:13], v[16:17], v[12:13]
	v_fma_f64 v[16:17], -v[8:9], v[12:13], 1.0
	v_fma_f64 v[12:13], v[12:13], v[16:17], v[12:13]
	v_div_scale_f64 v[16:17], vcc_lo, v[6:7], v[0:1], v[6:7]
	v_mul_f64 v[20:21], v[16:17], v[12:13]
	v_fma_f64 v[8:9], -v[8:9], v[20:21], v[16:17]
	v_div_fmas_f64 v[8:9], v[8:9], v[12:13], v[20:21]
	v_div_fixup_f64 v[6:7], v[8:9], v[0:1], v[6:7]
	v_div_scale_f64 v[8:9], null, v[0:1], v[0:1], -1.0
	v_rcp_f64_e32 v[12:13], v[8:9]
	v_fma_f64 v[16:17], -v[8:9], v[12:13], 1.0
	v_fma_f64 v[12:13], v[12:13], v[16:17], v[12:13]
	v_fma_f64 v[16:17], -v[8:9], v[12:13], 1.0
	v_fma_f64 v[12:13], v[12:13], v[16:17], v[12:13]
	v_div_scale_f64 v[16:17], vcc_lo, -1.0, v[0:1], -1.0
	v_mul_f64 v[20:21], v[16:17], v[12:13]
	v_fma_f64 v[8:9], -v[8:9], v[20:21], v[16:17]
	v_div_fmas_f64 v[8:9], v[8:9], v[12:13], v[20:21]
                                        ; implicit-def: $vgpr12_vgpr13
	v_div_fixup_f64 v[8:9], v[8:9], v[0:1], -1.0
	v_cmp_ngt_f64_e64 s0, |v[8:9]|, s[0:1]
	s_mov_b32 s1, exec_lo
	s_clause 0x7
	buffer_load_dword v90, off, s[56:59], 0 offset:304
	buffer_load_dword v91, off, s[56:59], 0 offset:308
	;; [unrolled: 1-line block ×8, first 2 shown]
	s_and_b32 s2, s1, s0
	s_xor_b32 s0, s2, s1
	s_mov_b32 exec_lo, s2
; %bb.6:
	v_mul_f64 v[12:13], s[12:13], v[6:7]
                                        ; implicit-def: $vgpr8_vgpr9
                                        ; implicit-def: $vgpr6_vgpr7
; %bb.7:
	s_andn2_saveexec_b32 s1, s0
	s_cbranch_execz .LBB0_9
; %bb.8:
	v_mul_f64 v[0:1], s[12:13], v[8:9]
	s_mov_b32 s2, 0x652b82fe
	s_mov_b32 s3, 0x3ff71547
	s_mov_b32 s4, 0x6a5dcb37
	s_mov_b32 s5, 0x3e5ade15
	v_mul_f64 v[12:13], v[0:1], s[2:3]
	s_mov_b32 s2, 0xfefa39ef
	s_mov_b32 s3, 0xbfe62e42
	v_cmp_nlt_f64_e32 vcc_lo, 0x40900000, v[0:1]
	v_cmp_ngt_f64_e64 s0, 0xc090cc00, v[0:1]
	v_rndne_f64_e32 v[12:13], v[12:13]
	v_fma_f64 v[16:17], v[12:13], s[2:3], v[0:1]
	s_mov_b32 s2, 0x3b39803f
	s_mov_b32 s3, 0xbc7abc9e
	v_cvt_i32_f64_e32 v24, v[12:13]
	v_fma_f64 v[16:17], v[12:13], s[2:3], v[16:17]
	s_mov_b32 s2, 0xfca7ab0c
	s_mov_b32 s3, 0x3e928af3
	v_fma_f64 v[20:21], v[16:17], s[4:5], s[2:3]
	s_mov_b32 s2, 0x623fde64
	s_mov_b32 s3, 0x3ec71dee
	;; [unrolled: 3-line block ×9, first 2 shown]
	v_fma_f64 v[20:21], v[16:17], v[20:21], s[2:3]
	v_fma_f64 v[20:21], v[16:17], v[20:21], 1.0
	v_fma_f64 v[12:13], v[16:17], v[20:21], 1.0
	v_ldexp_f64 v[12:13], v[12:13], v24
	v_add_f64 v[12:13], v[12:13], -1.0
	v_cndmask_b32_e32 v13, 0x7ff00000, v13, vcc_lo
	s_and_b32 vcc_lo, s0, vcc_lo
	v_cndmask_b32_e32 v0, 0, v12, vcc_lo
	v_cndmask_b32_e64 v1, 0xbff00000, v13, s0
	v_mul_f64 v[0:1], v[6:7], v[0:1]
	v_div_scale_f64 v[6:7], null, v[8:9], v[8:9], v[0:1]
	v_rcp_f64_e32 v[12:13], v[6:7]
	v_fma_f64 v[16:17], -v[6:7], v[12:13], 1.0
	v_fma_f64 v[12:13], v[12:13], v[16:17], v[12:13]
	v_fma_f64 v[16:17], -v[6:7], v[12:13], 1.0
	v_fma_f64 v[12:13], v[12:13], v[16:17], v[12:13]
	v_div_scale_f64 v[16:17], vcc_lo, v[0:1], v[8:9], v[0:1]
	v_mul_f64 v[20:21], v[16:17], v[12:13]
	v_fma_f64 v[6:7], -v[6:7], v[20:21], v[16:17]
	v_div_fmas_f64 v[6:7], v[6:7], v[12:13], v[20:21]
	v_div_fixup_f64 v[12:13], v[6:7], v[8:9], v[0:1]
.LBB0_9:
	s_or_b32 exec_lo, exec_lo, s1
	s_clause 0x1
	buffer_load_dword v4, off, s[56:59], 0 offset:400
	buffer_load_dword v5, off, s[56:59], 0 offset:404
	v_add_f64 v[0:1], v[28:29], v[12:13]
	s_mov_b32 s0, 0xb6db6db7
	s_mov_b32 s1, 0xbfd6db6d
	;; [unrolled: 1-line block ×6, first 2 shown]
	s_waitcnt vmcnt(0)
	global_store_dwordx2 v[4:5], v[0:1], off
	v_div_scale_f64 v[0:1], null, 0xc02c0000, 0xc02c0000, v[2:3]
	v_rcp_f64_e32 v[6:7], v[0:1]
	v_fma_f64 v[8:9], -v[0:1], v[6:7], 1.0
	v_fma_f64 v[6:7], v[6:7], v[8:9], v[6:7]
	v_fma_f64 v[8:9], -v[0:1], v[6:7], 1.0
	v_fma_f64 v[6:7], v[6:7], v[8:9], v[6:7]
	v_div_scale_f64 v[8:9], vcc_lo, v[2:3], 0xc02c0000, v[2:3]
	v_mul_f64 v[12:13], v[8:9], v[6:7]
	v_fma_f64 v[0:1], -v[0:1], v[12:13], v[8:9]
	v_div_fmas_f64 v[0:1], v[0:1], v[6:7], v[12:13]
	v_div_fixup_f64 v[0:1], v[0:1], 0xc02c0000, v[2:3]
	v_add_f64 v[0:1], v[0:1], s[0:1]
	s_mov_b32 s1, 0x3feaaaaa
	v_mul_f64 v[6:7], v[0:1], s[2:3]
	v_cmp_ngt_f64_e64 s0, 0xc090cc00, v[0:1]
	v_rndne_f64_e32 v[6:7], v[6:7]
	v_fma_f64 v[8:9], v[6:7], s[4:5], v[0:1]
	v_fma_f64 v[8:9], v[6:7], s[6:7], v[8:9]
	v_cvt_i32_f64_e32 v6, v[6:7]
	v_fma_f64 v[12:13], v[8:9], s[14:15], s[8:9]
	v_fma_f64 v[12:13], v[8:9], v[12:13], s[16:17]
	;; [unrolled: 1-line block ×9, first 2 shown]
	v_fma_f64 v[12:13], v[8:9], v[12:13], 1.0
	v_fma_f64 v[8:9], v[8:9], v[12:13], 1.0
	v_ldexp_f64 v[6:7], v[8:9], v6
	v_add_f64 v[6:7], v[6:7], 1.0
	v_div_scale_f64 v[8:9], null, v[6:7], v[6:7], 1.0
	v_rcp_f64_e32 v[12:13], v[8:9]
	v_fma_f64 v[16:17], -v[8:9], v[12:13], 1.0
	v_fma_f64 v[12:13], v[12:13], v[16:17], v[12:13]
	v_fma_f64 v[16:17], -v[8:9], v[12:13], 1.0
	v_fma_f64 v[12:13], v[12:13], v[16:17], v[12:13]
	v_div_scale_f64 v[16:17], vcc_lo, 1.0, v[6:7], 1.0
	v_mul_f64 v[20:21], v[16:17], v[12:13]
	v_fma_f64 v[8:9], -v[8:9], v[20:21], v[16:17]
	v_div_fmas_f64 v[8:9], v[8:9], v[12:13], v[20:21]
	v_cmp_nlt_f64_e32 vcc_lo, 0x40900000, v[0:1]
	v_div_scale_f64 v[0:1], null, 0x40180000, 0x40180000, v[2:3]
	v_div_fixup_f64 v[6:7], v[8:9], v[6:7], 1.0
	v_rcp_f64_e32 v[8:9], v[0:1]
	v_cndmask_b32_e32 v7, 0, v7, vcc_lo
	s_and_b32 vcc_lo, s0, vcc_lo
	v_cndmask_b32_e32 v6, 0, v6, vcc_lo
	v_fma_f64 v[12:13], -v[0:1], v[8:9], 1.0
	v_cndmask_b32_e64 v7, 0x3ff00000, v7, s0
	s_mov_b32 s0, 0xaaaaaaab
	v_fma_f64 v[8:9], v[8:9], v[12:13], v[8:9]
	v_fma_f64 v[12:13], -v[0:1], v[8:9], 1.0
	v_fma_f64 v[8:9], v[8:9], v[12:13], v[8:9]
	v_div_scale_f64 v[12:13], vcc_lo, v[2:3], 0x40180000, v[2:3]
	v_mul_f64 v[16:17], v[12:13], v[8:9]
	v_fma_f64 v[0:1], -v[0:1], v[16:17], v[12:13]
	v_div_fmas_f64 v[0:1], v[0:1], v[8:9], v[16:17]
	v_div_fixup_f64 v[96:97], v[0:1], 0x40180000, v[2:3]
	v_add_f64 v[0:1], -v[96:97], s[0:1]
	s_mov_b32 s1, 0xc002aaaa
	v_mul_f64 v[8:9], v[0:1], s[2:3]
	v_cmp_nlt_f64_e32 vcc_lo, 0x40900000, v[0:1]
	v_rndne_f64_e32 v[8:9], v[8:9]
	v_fma_f64 v[12:13], v[8:9], s[4:5], v[0:1]
	v_fma_f64 v[12:13], v[8:9], s[6:7], v[12:13]
	v_cvt_i32_f64_e32 v8, v[8:9]
	v_fma_f64 v[16:17], v[12:13], s[14:15], s[8:9]
	v_fma_f64 v[16:17], v[12:13], v[16:17], s[16:17]
	;; [unrolled: 1-line block ×9, first 2 shown]
	v_fma_f64 v[16:17], v[12:13], v[16:17], 1.0
	v_fma_f64 v[12:13], v[12:13], v[16:17], 1.0
	v_ldexp_f64 v[8:9], v[12:13], v8
	v_add_f64 v[8:9], v[8:9], 1.0
	v_cndmask_b32_e32 v9, 0x7ff00000, v9, vcc_lo
	v_cndmask_b32_e32 v8, 0, v8, vcc_lo
	v_cmp_gt_f64_e32 vcc_lo, 0x10000000, v[8:9]
	v_cndmask_b32_e64 v12, 0, 0x100, vcc_lo
	v_ldexp_f64 v[8:9], v[8:9], v12
	v_rsq_f64_e32 v[12:13], v[8:9]
	v_mul_f64 v[16:17], v[8:9], v[12:13]
	v_mul_f64 v[12:13], v[12:13], 0.5
	v_fma_f64 v[20:21], -v[12:13], v[16:17], 0.5
	v_fma_f64 v[16:17], v[16:17], v[20:21], v[16:17]
	v_fma_f64 v[12:13], v[12:13], v[20:21], v[12:13]
	v_fma_f64 v[24:25], -v[16:17], v[16:17], v[8:9]
	v_fma_f64 v[16:17], v[24:25], v[12:13], v[16:17]
	v_fma_f64 v[20:21], -v[16:17], v[16:17], v[8:9]
	v_fma_f64 v[12:13], v[20:21], v[12:13], v[16:17]
	v_cndmask_b32_e64 v16, 0, 0xffffff80, vcc_lo
	v_cmp_class_f64_e64 vcc_lo, v[8:9], 0x260
	v_ldexp_f64 v[12:13], v[12:13], v16
	v_cndmask_b32_e32 v9, v13, v9, vcc_lo
	v_cndmask_b32_e32 v8, v12, v8, vcc_lo
	v_div_scale_f64 v[12:13], null, v[8:9], v[8:9], 0x4095e000
	v_rcp_f64_e32 v[16:17], v[12:13]
	v_fma_f64 v[20:21], -v[12:13], v[16:17], 1.0
	v_fma_f64 v[16:17], v[16:17], v[20:21], v[16:17]
	v_fma_f64 v[20:21], -v[12:13], v[16:17], 1.0
	v_fma_f64 v[16:17], v[16:17], v[20:21], v[16:17]
	v_div_scale_f64 v[20:21], vcc_lo, 0x4095e000, v[8:9], 0x4095e000
	v_mul_f64 v[24:25], v[20:21], v[16:17]
	v_fma_f64 v[12:13], -v[12:13], v[24:25], v[20:21]
	v_div_fmas_f64 v[12:13], v[12:13], v[16:17], v[24:25]
	v_cmp_ngt_f64_e32 vcc_lo, 0xc090cc00, v[0:1]
	v_div_fixup_f64 v[8:9], v[12:13], v[8:9], 0x4095e000
	v_cndmask_b32_e32 v1, 0x4095e000, v9, vcc_lo
	v_cndmask_b32_e32 v0, 0, v8, vcc_lo
	v_div_scale_f64 v[8:9], null, 0x402e0000, 0x402e0000, v[2:3]
	v_rcp_f64_e32 v[12:13], v[8:9]
	v_fma_f64 v[16:17], -v[8:9], v[12:13], 1.0
	v_fma_f64 v[12:13], v[12:13], v[16:17], v[12:13]
	v_fma_f64 v[16:17], -v[8:9], v[12:13], 1.0
	v_fma_f64 v[12:13], v[12:13], v[16:17], v[12:13]
	v_div_scale_f64 v[16:17], vcc_lo, v[2:3], 0x402e0000, v[2:3]
	v_mul_f64 v[20:21], v[16:17], v[12:13]
	v_fma_f64 v[8:9], -v[8:9], v[20:21], v[16:17]
	v_div_fmas_f64 v[8:9], v[8:9], v[12:13], v[20:21]
	v_div_fixup_f64 v[8:9], v[8:9], 0x402e0000, v[2:3]
	v_add_f64 v[8:9], v[8:9], s[0:1]
	v_mul_f64 v[12:13], v[8:9], s[2:3]
	v_cmp_ngt_f64_e64 s0, 0xc090cc00, v[8:9]
	v_rndne_f64_e32 v[12:13], v[12:13]
	v_fma_f64 v[16:17], v[12:13], s[4:5], v[8:9]
	v_fma_f64 v[16:17], v[12:13], s[6:7], v[16:17]
	v_cvt_i32_f64_e32 v12, v[12:13]
	v_fma_f64 v[20:21], v[16:17], s[14:15], s[8:9]
	v_fma_f64 v[20:21], v[16:17], v[20:21], s[16:17]
	v_fma_f64 v[20:21], v[16:17], v[20:21], s[18:19]
	v_fma_f64 v[20:21], v[16:17], v[20:21], s[20:21]
	v_fma_f64 v[20:21], v[16:17], v[20:21], s[22:23]
	v_fma_f64 v[20:21], v[16:17], v[20:21], s[24:25]
	v_fma_f64 v[20:21], v[16:17], v[20:21], s[26:27]
	v_fma_f64 v[20:21], v[16:17], v[20:21], s[28:29]
	v_fma_f64 v[20:21], v[16:17], v[20:21], s[30:31]
	v_fma_f64 v[20:21], v[16:17], v[20:21], 1.0
	v_fma_f64 v[16:17], v[16:17], v[20:21], 1.0
	v_ldexp_f64 v[12:13], v[16:17], v12
	v_add_f64 v[12:13], v[12:13], 1.0
	v_div_scale_f64 v[16:17], null, v[12:13], v[12:13], 1.0
	v_rcp_f64_e32 v[20:21], v[16:17]
	v_fma_f64 v[24:25], -v[16:17], v[20:21], 1.0
	v_fma_f64 v[20:21], v[20:21], v[24:25], v[20:21]
	v_fma_f64 v[24:25], -v[16:17], v[20:21], 1.0
	v_fma_f64 v[20:21], v[20:21], v[24:25], v[20:21]
	v_div_scale_f64 v[24:25], vcc_lo, 1.0, v[12:13], 1.0
	v_mul_f64 v[28:29], v[24:25], v[20:21]
	v_fma_f64 v[16:17], -v[16:17], v[28:29], v[24:25]
	v_div_fmas_f64 v[16:17], v[16:17], v[20:21], v[28:29]
	v_cmp_nlt_f64_e32 vcc_lo, 0x40900000, v[8:9]
	v_div_fixup_f64 v[12:13], v[16:17], v[12:13], 1.0
	v_cndmask_b32_e32 v13, 0, v13, vcc_lo
	s_and_b32 vcc_lo, s0, vcc_lo
	v_cndmask_b32_e32 v8, 0, v12, vcc_lo
	v_cndmask_b32_e64 v9, 0x3ff00000, v13, s0
	s_mov_b32 s0, 0xe2308c3a
	s_mov_b32 s1, 0x3e45798e
	v_fma_f64 v[0:1], v[8:9], v[0:1], 0x40540000
	s_clause 0x1
	buffer_load_dword v8, off, s[56:59], 0 offset:48
	buffer_load_dword v9, off, s[56:59], 0 offset:52
	s_waitcnt vmcnt(0)
	v_add_f64 v[6:7], v[6:7], -v[8:9]
	v_div_scale_f64 v[8:9], null, v[0:1], v[0:1], v[6:7]
	v_rcp_f64_e32 v[12:13], v[8:9]
	v_fma_f64 v[16:17], -v[8:9], v[12:13], 1.0
	v_fma_f64 v[12:13], v[12:13], v[16:17], v[12:13]
	v_fma_f64 v[16:17], -v[8:9], v[12:13], 1.0
	v_fma_f64 v[12:13], v[12:13], v[16:17], v[12:13]
	v_div_scale_f64 v[16:17], vcc_lo, v[6:7], v[0:1], v[6:7]
	v_mul_f64 v[20:21], v[16:17], v[12:13]
	v_fma_f64 v[8:9], -v[8:9], v[20:21], v[16:17]
	v_div_fmas_f64 v[8:9], v[8:9], v[12:13], v[20:21]
	v_div_fixup_f64 v[6:7], v[8:9], v[0:1], v[6:7]
	v_div_scale_f64 v[8:9], null, v[0:1], v[0:1], -1.0
	v_rcp_f64_e32 v[12:13], v[8:9]
	v_fma_f64 v[16:17], -v[8:9], v[12:13], 1.0
	v_fma_f64 v[12:13], v[12:13], v[16:17], v[12:13]
	v_fma_f64 v[16:17], -v[8:9], v[12:13], 1.0
	v_fma_f64 v[12:13], v[12:13], v[16:17], v[12:13]
	v_div_scale_f64 v[16:17], vcc_lo, -1.0, v[0:1], -1.0
	v_mul_f64 v[20:21], v[16:17], v[12:13]
	v_fma_f64 v[8:9], -v[8:9], v[20:21], v[16:17]
	v_div_fmas_f64 v[8:9], v[8:9], v[12:13], v[20:21]
                                        ; implicit-def: $vgpr12_vgpr13
	v_div_fixup_f64 v[8:9], v[8:9], v[0:1], -1.0
	v_cmp_ngt_f64_e64 s0, |v[8:9]|, s[0:1]
	s_and_saveexec_b32 s1, s0
	s_xor_b32 s0, exec_lo, s1
; %bb.10:
	v_mul_f64 v[12:13], s[12:13], v[6:7]
                                        ; implicit-def: $vgpr8_vgpr9
                                        ; implicit-def: $vgpr6_vgpr7
; %bb.11:
	s_andn2_saveexec_b32 s1, s0
	s_cbranch_execz .LBB0_13
; %bb.12:
	v_mul_f64 v[0:1], s[12:13], v[8:9]
	s_mov_b32 s4, 0x6a5dcb37
	s_mov_b32 s5, 0x3e5ade15
	v_mul_f64 v[12:13], v[0:1], s[2:3]
	s_mov_b32 s2, 0xfefa39ef
	s_mov_b32 s3, 0xbfe62e42
	v_cmp_nlt_f64_e32 vcc_lo, 0x40900000, v[0:1]
	v_cmp_ngt_f64_e64 s0, 0xc090cc00, v[0:1]
	v_rndne_f64_e32 v[12:13], v[12:13]
	v_fma_f64 v[16:17], v[12:13], s[2:3], v[0:1]
	s_mov_b32 s2, 0x3b39803f
	s_mov_b32 s3, 0xbc7abc9e
	v_cvt_i32_f64_e32 v24, v[12:13]
	v_fma_f64 v[16:17], v[12:13], s[2:3], v[16:17]
	s_mov_b32 s2, 0xfca7ab0c
	s_mov_b32 s3, 0x3e928af3
	v_fma_f64 v[20:21], v[16:17], s[4:5], s[2:3]
	s_mov_b32 s2, 0x623fde64
	s_mov_b32 s3, 0x3ec71dee
	;; [unrolled: 3-line block ×9, first 2 shown]
	v_fma_f64 v[20:21], v[16:17], v[20:21], s[2:3]
	v_fma_f64 v[20:21], v[16:17], v[20:21], 1.0
	v_fma_f64 v[12:13], v[16:17], v[20:21], 1.0
	v_ldexp_f64 v[12:13], v[12:13], v24
	v_add_f64 v[12:13], v[12:13], -1.0
	v_cndmask_b32_e32 v13, 0x7ff00000, v13, vcc_lo
	s_and_b32 vcc_lo, s0, vcc_lo
	v_cndmask_b32_e32 v0, 0, v12, vcc_lo
	v_cndmask_b32_e64 v1, 0xbff00000, v13, s0
	v_mul_f64 v[0:1], v[6:7], v[0:1]
	v_div_scale_f64 v[6:7], null, v[8:9], v[8:9], v[0:1]
	v_rcp_f64_e32 v[12:13], v[6:7]
	v_fma_f64 v[16:17], -v[6:7], v[12:13], 1.0
	v_fma_f64 v[12:13], v[12:13], v[16:17], v[12:13]
	v_fma_f64 v[16:17], -v[6:7], v[12:13], 1.0
	v_fma_f64 v[12:13], v[12:13], v[16:17], v[12:13]
	v_div_scale_f64 v[16:17], vcc_lo, v[0:1], v[8:9], v[0:1]
	v_mul_f64 v[20:21], v[16:17], v[12:13]
	v_fma_f64 v[6:7], -v[6:7], v[20:21], v[16:17]
	v_div_fmas_f64 v[6:7], v[6:7], v[12:13], v[20:21]
	v_div_fixup_f64 v[12:13], v[6:7], v[8:9], v[0:1]
.LBB0_13:
	s_or_b32 exec_lo, exec_lo, s1
	s_clause 0x3
	buffer_load_dword v0, off, s[56:59], 0 offset:48
	buffer_load_dword v1, off, s[56:59], 0 offset:52
	buffer_load_dword v4, off, s[56:59], 0 offset:392
	buffer_load_dword v5, off, s[56:59], 0 offset:396
	s_mov_b32 s0, 0xf8a106f3
	s_mov_b32 s1, 0xbfbc5995
	;; [unrolled: 1-line block ×6, first 2 shown]
	s_waitcnt vmcnt(2)
	v_add_f64 v[0:1], v[0:1], v[12:13]
	s_waitcnt vmcnt(0)
	global_store_dwordx2 v[4:5], v[0:1], off
	v_mul_f64 v[0:1], v[2:3], s[0:1]
	s_mov_b32 s0, 0x9f942391
	s_mov_b32 s1, 0x3f5e2ecb
	v_mul_f64 v[6:7], v[0:1], s[2:3]
	v_cmp_nlt_f64_e32 vcc_lo, 0x40900000, v[0:1]
	v_rndne_f64_e32 v[6:7], v[6:7]
	v_fma_f64 v[8:9], v[6:7], s[4:5], v[0:1]
	v_fma_f64 v[8:9], v[6:7], s[6:7], v[8:9]
	v_cvt_i32_f64_e32 v6, v[6:7]
	v_fma_f64 v[12:13], v[8:9], s[14:15], s[8:9]
	v_fma_f64 v[12:13], v[8:9], v[12:13], s[16:17]
	;; [unrolled: 1-line block ×9, first 2 shown]
	v_fma_f64 v[12:13], v[8:9], v[12:13], 1.0
	v_fma_f64 v[8:9], v[8:9], v[12:13], 1.0
	v_ldexp_f64 v[6:7], v[8:9], v6
	v_fma_f64 v[6:7], v[6:7], s[0:1], 1.0
	v_cmp_ngt_f64_e64 s0, 0xc090cc00, v[0:1]
	v_cndmask_b32_e32 v7, 0x7ff00000, v7, vcc_lo
	s_and_b32 vcc_lo, s0, vcc_lo
	v_cndmask_b32_e32 v0, 0, v6, vcc_lo
	v_cndmask_b32_e64 v1, 0x3ff00000, v7, s0
	v_mul_f64 v[0:1], v[0:1], v[0:1]
	v_div_scale_f64 v[6:7], null, v[0:1], v[0:1], 1.0
	v_rcp_f64_e32 v[8:9], v[6:7]
	v_fma_f64 v[12:13], -v[6:7], v[8:9], 1.0
	v_fma_f64 v[8:9], v[8:9], v[12:13], v[8:9]
	v_fma_f64 v[12:13], -v[6:7], v[8:9], 1.0
	v_fma_f64 v[8:9], v[8:9], v[12:13], v[8:9]
	v_div_scale_f64 v[12:13], vcc_lo, 1.0, v[0:1], 1.0
	v_mul_f64 v[16:17], v[12:13], v[8:9]
	v_fma_f64 v[6:7], -v[6:7], v[16:17], v[12:13]
	v_div_fmas_f64 v[6:7], v[6:7], v[8:9], v[16:17]
	v_div_fixup_f64 v[6:7], v[6:7], v[0:1], 1.0
	v_div_scale_f64 v[0:1], null, 0x40140000, 0x40140000, v[2:3]
	v_rcp_f64_e32 v[8:9], v[0:1]
	v_fma_f64 v[12:13], -v[0:1], v[8:9], 1.0
	v_fma_f64 v[8:9], v[8:9], v[12:13], v[8:9]
	v_fma_f64 v[12:13], -v[0:1], v[8:9], 1.0
	v_fma_f64 v[8:9], v[8:9], v[12:13], v[8:9]
	v_div_scale_f64 v[12:13], vcc_lo, v[2:3], 0x40140000, v[2:3]
	v_mul_f64 v[16:17], v[12:13], v[8:9]
	v_fma_f64 v[0:1], -v[0:1], v[16:17], v[12:13]
	v_div_fmas_f64 v[0:1], v[0:1], v[8:9], v[16:17]
	v_div_fixup_f64 v[38:39], v[0:1], 0x40140000, v[2:3]
	v_add_f64 v[0:1], 0xc0280000, -v[38:39]
	v_mul_f64 v[8:9], v[0:1], s[2:3]
	v_cmp_ngt_f64_e64 s0, 0xc090cc00, v[0:1]
	v_rndne_f64_e32 v[8:9], v[8:9]
	v_fma_f64 v[12:13], v[8:9], s[4:5], v[0:1]
	v_fma_f64 v[12:13], v[8:9], s[6:7], v[12:13]
	v_cvt_i32_f64_e32 v8, v[8:9]
	v_fma_f64 v[16:17], v[12:13], s[14:15], s[8:9]
	v_fma_f64 v[16:17], v[12:13], v[16:17], s[16:17]
	;; [unrolled: 1-line block ×9, first 2 shown]
	v_fma_f64 v[16:17], v[12:13], v[16:17], 1.0
	v_fma_f64 v[12:13], v[12:13], v[16:17], 1.0
	v_ldexp_f64 v[8:9], v[12:13], v8
	v_add_f64 v[8:9], v[8:9], 1.0
	v_div_scale_f64 v[12:13], null, v[8:9], v[8:9], 1.0
	v_rcp_f64_e32 v[16:17], v[12:13]
	v_fma_f64 v[20:21], -v[12:13], v[16:17], 1.0
	v_fma_f64 v[16:17], v[16:17], v[20:21], v[16:17]
	v_fma_f64 v[20:21], -v[12:13], v[16:17], 1.0
	v_fma_f64 v[16:17], v[16:17], v[20:21], v[16:17]
	v_div_scale_f64 v[20:21], vcc_lo, 1.0, v[8:9], 1.0
	v_mul_f64 v[24:25], v[20:21], v[16:17]
	v_fma_f64 v[12:13], -v[12:13], v[24:25], v[20:21]
	v_div_fmas_f64 v[12:13], v[12:13], v[16:17], v[24:25]
	v_cmp_nlt_f64_e32 vcc_lo, 0x40900000, v[0:1]
	v_add_f64 v[0:1], 0x401c0000, v[38:39]
	v_div_fixup_f64 v[8:9], v[12:13], v[8:9], 1.0
	v_mul_f64 v[12:13], v[0:1], s[2:3]
	v_cndmask_b32_e32 v9, 0, v9, vcc_lo
	s_and_b32 vcc_lo, s0, vcc_lo
	v_rndne_f64_e32 v[12:13], v[12:13]
	v_cndmask_b32_e32 v8, 0, v8, vcc_lo
	v_cndmask_b32_e64 v9, 0x3ff00000, v9, s0
	s_mov_b32 s0, 0x9999999a
	s_mov_b32 s1, 0x3fb99999
	v_fma_f64 v[16:17], v[12:13], s[4:5], v[0:1]
	v_fma_f64 v[16:17], v[12:13], s[6:7], v[16:17]
	v_cvt_i32_f64_e32 v12, v[12:13]
	v_fma_f64 v[20:21], v[16:17], s[14:15], s[8:9]
	v_fma_f64 v[20:21], v[16:17], v[20:21], s[16:17]
	;; [unrolled: 1-line block ×9, first 2 shown]
	v_fma_f64 v[20:21], v[16:17], v[20:21], 1.0
	v_fma_f64 v[16:17], v[16:17], v[20:21], 1.0
	v_ldexp_f64 v[12:13], v[16:17], v12
	v_add_f64 v[12:13], v[12:13], 1.0
	v_div_scale_f64 v[16:17], null, v[12:13], v[12:13], s[0:1]
	v_rcp_f64_e32 v[20:21], v[16:17]
	v_fma_f64 v[24:25], -v[16:17], v[20:21], 1.0
	v_fma_f64 v[20:21], v[20:21], v[24:25], v[20:21]
	v_fma_f64 v[24:25], -v[16:17], v[20:21], 1.0
	v_fma_f64 v[20:21], v[20:21], v[24:25], v[20:21]
	v_div_scale_f64 v[24:25], vcc_lo, s[0:1], v[12:13], s[0:1]
	v_mul_f64 v[26:27], v[24:25], v[20:21]
	v_fma_f64 v[16:17], -v[16:17], v[26:27], v[24:25]
	v_div_fmas_f64 v[16:17], v[16:17], v[20:21], v[26:27]
	v_cmp_nlt_f64_e32 vcc_lo, 0x40900000, v[0:1]
	v_div_fixup_f64 v[12:13], v[16:17], v[12:13], s[0:1]
	v_cndmask_b32_e32 v12, 0, v12, vcc_lo
	v_cndmask_b32_e32 v13, 0, v13, vcc_lo
	v_cmp_ngt_f64_e32 vcc_lo, 0xc090cc00, v[0:1]
	v_cndmask_b32_e32 v1, 0x3fb99999, v13, vcc_lo
	v_cndmask_b32_e32 v0, 0x9999999a, v12, vcc_lo
	v_div_scale_f64 v[12:13], null, 0x40690000, 0x40690000, v[2:3]
	v_rcp_f64_e32 v[16:17], v[12:13]
	v_fma_f64 v[20:21], -v[12:13], v[16:17], 1.0
	v_fma_f64 v[16:17], v[16:17], v[20:21], v[16:17]
	v_fma_f64 v[20:21], -v[12:13], v[16:17], 1.0
	v_fma_f64 v[16:17], v[16:17], v[20:21], v[16:17]
	v_div_scale_f64 v[20:21], vcc_lo, v[2:3], 0x40690000, v[2:3]
	v_mul_f64 v[24:25], v[20:21], v[16:17]
	v_fma_f64 v[12:13], -v[12:13], v[24:25], v[20:21]
	v_div_fmas_f64 v[12:13], v[12:13], v[16:17], v[24:25]
	v_div_fixup_f64 v[12:13], v[12:13], 0x40690000, v[2:3]
	v_add_f64 v[12:13], 0xbfd00000, v[12:13]
	v_mul_f64 v[16:17], v[12:13], s[2:3]
	v_rndne_f64_e32 v[16:17], v[16:17]
	v_fma_f64 v[20:21], v[16:17], s[4:5], v[12:13]
	v_fma_f64 v[20:21], v[16:17], s[6:7], v[20:21]
	v_cvt_i32_f64_e32 v16, v[16:17]
	v_fma_f64 v[24:25], v[20:21], s[14:15], s[8:9]
	v_fma_f64 v[24:25], v[20:21], v[24:25], s[16:17]
	;; [unrolled: 1-line block ×9, first 2 shown]
	v_fma_f64 v[24:25], v[20:21], v[24:25], 1.0
	v_fma_f64 v[20:21], v[20:21], v[24:25], 1.0
	v_ldexp_f64 v[16:17], v[20:21], v16
	v_add_f64 v[16:17], v[16:17], 1.0
	v_div_scale_f64 v[20:21], null, v[16:17], v[16:17], s[0:1]
	v_rcp_f64_e32 v[24:25], v[20:21]
	v_fma_f64 v[26:27], -v[20:21], v[24:25], 1.0
	v_fma_f64 v[24:25], v[24:25], v[26:27], v[24:25]
	v_fma_f64 v[26:27], -v[20:21], v[24:25], 1.0
	v_fma_f64 v[24:25], v[24:25], v[26:27], v[24:25]
	v_div_scale_f64 v[26:27], vcc_lo, s[0:1], v[16:17], s[0:1]
	v_mul_f64 v[28:29], v[26:27], v[24:25]
	v_fma_f64 v[20:21], -v[20:21], v[28:29], v[26:27]
	v_div_fmas_f64 v[20:21], v[20:21], v[24:25], v[28:29]
	v_cmp_nlt_f64_e32 vcc_lo, 0x40900000, v[12:13]
	v_div_fixup_f64 v[16:17], v[20:21], v[16:17], s[0:1]
	s_mov_b32 s0, 0xe2308c3a
	s_mov_b32 s1, 0x3e45798e
	v_cndmask_b32_e32 v16, 0, v16, vcc_lo
	v_cndmask_b32_e32 v17, 0, v17, vcc_lo
	v_cmp_ngt_f64_e32 vcc_lo, 0xc090cc00, v[12:13]
	v_cndmask_b32_e32 v13, 0x3fb99999, v17, vcc_lo
	v_cndmask_b32_e32 v12, 0x9999999a, v16, vcc_lo
	v_add_f64 v[0:1], v[0:1], v[12:13]
	v_mul_f64 v[0:1], v[8:9], v[0:1]
	s_clause 0x1
	buffer_load_dword v8, off, s[56:59], 0 offset:56
	buffer_load_dword v9, off, s[56:59], 0 offset:60
	s_waitcnt vmcnt(0)
	v_add_f64 v[6:7], v[6:7], -v[8:9]
	v_div_scale_f64 v[8:9], null, v[0:1], v[0:1], v[6:7]
	v_rcp_f64_e32 v[12:13], v[8:9]
	v_fma_f64 v[16:17], -v[8:9], v[12:13], 1.0
	v_fma_f64 v[12:13], v[12:13], v[16:17], v[12:13]
	v_fma_f64 v[16:17], -v[8:9], v[12:13], 1.0
	v_fma_f64 v[12:13], v[12:13], v[16:17], v[12:13]
	v_div_scale_f64 v[16:17], vcc_lo, v[6:7], v[0:1], v[6:7]
	v_mul_f64 v[20:21], v[16:17], v[12:13]
	v_fma_f64 v[8:9], -v[8:9], v[20:21], v[16:17]
	v_div_fmas_f64 v[8:9], v[8:9], v[12:13], v[20:21]
	v_div_fixup_f64 v[6:7], v[8:9], v[0:1], v[6:7]
	v_div_scale_f64 v[8:9], null, v[0:1], v[0:1], -1.0
	v_rcp_f64_e32 v[12:13], v[8:9]
	v_fma_f64 v[16:17], -v[8:9], v[12:13], 1.0
	v_fma_f64 v[12:13], v[12:13], v[16:17], v[12:13]
	v_fma_f64 v[16:17], -v[8:9], v[12:13], 1.0
	v_fma_f64 v[12:13], v[12:13], v[16:17], v[12:13]
	v_div_scale_f64 v[16:17], vcc_lo, -1.0, v[0:1], -1.0
	v_mul_f64 v[20:21], v[16:17], v[12:13]
	v_fma_f64 v[8:9], -v[8:9], v[20:21], v[16:17]
	v_div_fmas_f64 v[8:9], v[8:9], v[12:13], v[20:21]
                                        ; implicit-def: $vgpr12_vgpr13
	v_div_fixup_f64 v[8:9], v[8:9], v[0:1], -1.0
	v_cmp_ngt_f64_e64 s0, |v[8:9]|, s[0:1]
	s_and_saveexec_b32 s1, s0
	s_xor_b32 s0, exec_lo, s1
; %bb.14:
	v_mul_f64 v[12:13], s[12:13], v[6:7]
                                        ; implicit-def: $vgpr8_vgpr9
                                        ; implicit-def: $vgpr6_vgpr7
; %bb.15:
	s_andn2_saveexec_b32 s1, s0
	s_cbranch_execz .LBB0_17
; %bb.16:
	v_mul_f64 v[0:1], s[12:13], v[8:9]
	s_mov_b32 s4, 0x6a5dcb37
	s_mov_b32 s5, 0x3e5ade15
	v_mul_f64 v[12:13], v[0:1], s[2:3]
	s_mov_b32 s2, 0xfefa39ef
	s_mov_b32 s3, 0xbfe62e42
	v_cmp_nlt_f64_e32 vcc_lo, 0x40900000, v[0:1]
	v_cmp_ngt_f64_e64 s0, 0xc090cc00, v[0:1]
	v_rndne_f64_e32 v[12:13], v[12:13]
	v_fma_f64 v[16:17], v[12:13], s[2:3], v[0:1]
	s_mov_b32 s2, 0x3b39803f
	s_mov_b32 s3, 0xbc7abc9e
	v_cvt_i32_f64_e32 v24, v[12:13]
	v_fma_f64 v[16:17], v[12:13], s[2:3], v[16:17]
	s_mov_b32 s2, 0xfca7ab0c
	s_mov_b32 s3, 0x3e928af3
	v_fma_f64 v[20:21], v[16:17], s[4:5], s[2:3]
	s_mov_b32 s2, 0x623fde64
	s_mov_b32 s3, 0x3ec71dee
	;; [unrolled: 3-line block ×9, first 2 shown]
	v_fma_f64 v[20:21], v[16:17], v[20:21], s[2:3]
	v_fma_f64 v[20:21], v[16:17], v[20:21], 1.0
	v_fma_f64 v[12:13], v[16:17], v[20:21], 1.0
	v_ldexp_f64 v[12:13], v[12:13], v24
	v_add_f64 v[12:13], v[12:13], -1.0
	v_cndmask_b32_e32 v13, 0x7ff00000, v13, vcc_lo
	s_and_b32 vcc_lo, s0, vcc_lo
	v_cndmask_b32_e32 v0, 0, v12, vcc_lo
	v_cndmask_b32_e64 v1, 0xbff00000, v13, s0
	v_mul_f64 v[0:1], v[6:7], v[0:1]
	v_div_scale_f64 v[6:7], null, v[8:9], v[8:9], v[0:1]
	v_rcp_f64_e32 v[12:13], v[6:7]
	v_fma_f64 v[16:17], -v[6:7], v[12:13], 1.0
	v_fma_f64 v[12:13], v[12:13], v[16:17], v[12:13]
	v_fma_f64 v[16:17], -v[6:7], v[12:13], 1.0
	v_fma_f64 v[12:13], v[12:13], v[16:17], v[12:13]
	v_div_scale_f64 v[16:17], vcc_lo, v[0:1], v[8:9], v[0:1]
	v_mul_f64 v[20:21], v[16:17], v[12:13]
	v_fma_f64 v[6:7], -v[6:7], v[20:21], v[16:17]
	v_div_fmas_f64 v[6:7], v[6:7], v[12:13], v[20:21]
	v_div_fixup_f64 v[12:13], v[6:7], v[8:9], v[0:1]
.LBB0_17:
	s_or_b32 exec_lo, exec_lo, s1
	s_clause 0x3
	buffer_load_dword v0, off, s[56:59], 0 offset:56
	buffer_load_dword v1, off, s[56:59], 0 offset:60
	;; [unrolled: 1-line block ×4, first 2 shown]
	v_cmp_gt_f64_e64 s0, 0xc0440000, v[2:3]
	v_mov_b32_e32 v6, 0
	v_mov_b32_e32 v7, 0
	v_cmp_ngt_f64_e32 vcc_lo, 0xc0440000, v[2:3]
	s_waitcnt vmcnt(2)
	v_add_f64 v[0:1], v[0:1], v[12:13]
	s_waitcnt vmcnt(0)
	global_store_dwordx2 v[4:5], v[0:1], off
	s_and_saveexec_b32 s3, s0
	s_cbranch_execz .LBB0_19
; %bb.18:
	s_mov_b32 s4, 0xd2d2d2db
	s_mov_b32 s5, 0xbfc2d2d2
	;; [unrolled: 1-line block ×3, first 2 shown]
	v_mul_f64 v[0:1], v[2:3], s[4:5]
	s_mov_b32 s4, 0x652b82fe
	s_mov_b32 s5, 0x3ff71547
	;; [unrolled: 1-line block ×3, first 2 shown]
	v_mul_f64 v[6:7], v[0:1], s[4:5]
	s_mov_b32 s4, 0xfefa39ef
	s_mov_b32 s5, 0xbfe62e42
	v_cmp_nlt_f64_e64 s1, 0x40900000, v[0:1]
	v_cmp_ngt_f64_e64 s2, 0xc090cc00, v[0:1]
	v_rndne_f64_e32 v[6:7], v[6:7]
	v_fma_f64 v[8:9], v[6:7], s[4:5], v[0:1]
	s_mov_b32 s4, 0x3b39803f
	s_mov_b32 s5, 0xbc7abc9e
	v_cvt_i32_f64_e32 v12, v[6:7]
	v_fma_f64 v[8:9], v[6:7], s[4:5], v[8:9]
	s_mov_b32 s4, 0xfca7ab0c
	s_mov_b32 s5, 0x3e928af3
	v_fma_f64 v[10:11], v[8:9], s[6:7], s[4:5]
	s_mov_b32 s4, 0x623fde64
	s_mov_b32 s5, 0x3ec71dee
	v_fma_f64 v[10:11], v[8:9], v[10:11], s[4:5]
	s_mov_b32 s4, 0x7c89e6b0
	s_mov_b32 s5, 0x3efa0199
	v_fma_f64 v[10:11], v[8:9], v[10:11], s[4:5]
	s_mov_b32 s4, 0x14761f6e
	s_mov_b32 s5, 0x3f2a01a0
	v_fma_f64 v[10:11], v[8:9], v[10:11], s[4:5]
	s_mov_b32 s4, 0x1852b7b0
	s_mov_b32 s5, 0x3f56c16c
	v_fma_f64 v[10:11], v[8:9], v[10:11], s[4:5]
	s_mov_b32 s4, 0x11122322
	s_mov_b32 s5, 0x3f811111
	v_fma_f64 v[10:11], v[8:9], v[10:11], s[4:5]
	s_mov_b32 s4, 0x555502a1
	s_mov_b32 s5, 0x3fa55555
	v_fma_f64 v[10:11], v[8:9], v[10:11], s[4:5]
	s_mov_b32 s4, 0x55555511
	s_mov_b32 s5, 0x3fc55555
	v_fma_f64 v[10:11], v[8:9], v[10:11], s[4:5]
	s_mov_b32 s4, 11
	s_mov_b32 s5, 0x3fe00000
	v_fma_f64 v[10:11], v[8:9], v[10:11], s[4:5]
	s_mov_b32 s4, 0x3ee93363
	s_mov_b32 s5, 0x3e9dbcdc
	v_fma_f64 v[10:11], v[8:9], v[10:11], 1.0
	v_fma_f64 v[6:7], v[8:9], v[10:11], 1.0
	v_ldexp_f64 v[6:7], v[6:7], v12
	v_mul_f64 v[6:7], v[6:7], s[4:5]
	v_cndmask_b32_e64 v7, 0x7ff00000, v7, s1
	s_and_b32 s1, s2, s1
	v_cndmask_b32_e64 v6, 0, v6, s1
	v_cndmask_b32_e64 v7, 0, v7, s2
.LBB0_19:
	s_or_b32 exec_lo, exec_lo, s3
                                        ; implicit-def: $vgpr8_vgpr9
	s_and_saveexec_b32 s1, vcc_lo
	s_xor_b32 s1, exec_lo, s1
	s_cbranch_execz .LBB0_21
; %bb.20:
	s_mov_b32 s2, 0xe6a17103
	s_mov_b32 s3, 0xbfb71024
	;; [unrolled: 1-line block ×3, first 2 shown]
	v_mul_f64 v[0:1], v[2:3], s[2:3]
	s_mov_b32 s2, 0x652b82fe
	s_mov_b32 s3, 0x3ff71547
	s_mov_b32 s5, 0x3e5ade15
	v_mul_f64 v[8:9], v[0:1], s[2:3]
	s_mov_b32 s2, 0xfefa39ef
	s_mov_b32 s3, 0xbfe62e42
	v_rndne_f64_e32 v[8:9], v[8:9]
	v_fma_f64 v[10:11], v[8:9], s[2:3], v[0:1]
	s_mov_b32 s2, 0x3b39803f
	s_mov_b32 s3, 0xbc7abc9e
	v_cvt_i32_f64_e32 v16, v[8:9]
	v_fma_f64 v[10:11], v[8:9], s[2:3], v[10:11]
	s_mov_b32 s2, 0xfca7ab0c
	s_mov_b32 s3, 0x3e928af3
	v_fma_f64 v[12:13], v[10:11], s[4:5], s[2:3]
	s_mov_b32 s2, 0x623fde64
	s_mov_b32 s3, 0x3ec71dee
	;; [unrolled: 1-line block ×4, first 2 shown]
	v_fma_f64 v[12:13], v[10:11], v[12:13], s[2:3]
	s_mov_b32 s2, 0x7c89e6b0
	s_mov_b32 s3, 0x3efa0199
	v_fma_f64 v[12:13], v[10:11], v[12:13], s[2:3]
	s_mov_b32 s2, 0x14761f6e
	s_mov_b32 s3, 0x3f2a01a0
	;; [unrolled: 3-line block ×8, first 2 shown]
	v_fma_f64 v[12:13], v[10:11], v[12:13], 1.0
	v_fma_f64 v[8:9], v[10:11], v[12:13], 1.0
	v_ldexp_f64 v[8:9], v[8:9], v16
	v_fma_f64 v[8:9], v[8:9], s[4:5], s[2:3]
	s_mov_b32 s3, 0x3fe8a3d7
	v_div_scale_f64 v[10:11], null, v[8:9], v[8:9], s[2:3]
	v_div_scale_f64 v[20:21], vcc_lo, s[2:3], v[8:9], s[2:3]
	v_rcp_f64_e32 v[12:13], v[10:11]
	v_fma_f64 v[16:17], -v[10:11], v[12:13], 1.0
	v_fma_f64 v[12:13], v[12:13], v[16:17], v[12:13]
	v_fma_f64 v[16:17], -v[10:11], v[12:13], 1.0
	v_fma_f64 v[12:13], v[12:13], v[16:17], v[12:13]
	v_mul_f64 v[16:17], v[20:21], v[12:13]
	v_fma_f64 v[10:11], -v[10:11], v[16:17], v[20:21]
	v_div_fmas_f64 v[10:11], v[10:11], v[12:13], v[16:17]
	v_cmp_nlt_f64_e32 vcc_lo, 0x40900000, v[0:1]
	v_div_fixup_f64 v[8:9], v[10:11], v[8:9], s[2:3]
	v_cndmask_b32_e32 v8, 0, v8, vcc_lo
	v_cndmask_b32_e32 v9, 0, v9, vcc_lo
	v_cmp_ngt_f64_e32 vcc_lo, 0xc090cc00, v[0:1]
	v_cndmask_b32_e32 v9, 0x4017b13b, v9, vcc_lo
	v_cndmask_b32_e32 v8, 0x13b13b14, v8, vcc_lo
	s_andn2_saveexec_b32 s33, s1
	s_cbranch_execnz .LBB0_22
	s_branch .LBB0_23
.LBB0_21:
	s_andn2_saveexec_b32 s33, s1
	s_cbranch_execz .LBB0_23
.LBB0_22:
	s_mov_b32 s2, 0xf1a9fbe7
	s_mov_b32 s3, 0x3fd64dd2
	;; [unrolled: 1-line block ×3, first 2 shown]
	v_mul_f64 v[0:1], v[2:3], s[2:3]
	s_mov_b32 s31, 0x3ff71547
	s_mov_b32 s28, 0xfefa39ef
	;; [unrolled: 1-line block ×21, first 2 shown]
	v_mul_f64 v[8:9], v[0:1], s[30:31]
	s_mov_b32 s2, 11
	s_mov_b32 s3, 0x3fe00000
	;; [unrolled: 1-line block ×4, first 2 shown]
	v_cmp_nlt_f64_e32 vcc_lo, 0x40900000, v[0:1]
	v_cmp_ngt_f64_e64 s1, 0xc090cc00, v[0:1]
	v_rndne_f64_e32 v[8:9], v[8:9]
	v_fma_f64 v[10:11], v[8:9], s[28:29], v[0:1]
	v_mul_f64 v[0:1], v[2:3], s[34:35]
	v_fma_f64 v[10:11], v[8:9], s[26:27], v[10:11]
	v_cvt_i32_f64_e32 v8, v[8:9]
	v_fma_f64 v[12:13], v[10:11], s[24:25], s[22:23]
	v_fma_f64 v[12:13], v[10:11], v[12:13], s[20:21]
	;; [unrolled: 1-line block ×9, first 2 shown]
	v_fma_f64 v[12:13], v[10:11], v[12:13], 1.0
	v_fma_f64 v[10:11], v[10:11], v[12:13], 1.0
	v_ldexp_f64 v[8:9], v[10:11], v8
	v_mul_f64 v[10:11], v[0:1], s[30:31]
	v_mul_f64 v[8:9], 0x4112ebc0, v[8:9]
	v_rndne_f64_e32 v[10:11], v[10:11]
	v_cndmask_b32_e32 v9, 0x7ff00000, v9, vcc_lo
	v_fma_f64 v[12:13], v[10:11], s[28:29], v[0:1]
	s_and_b32 vcc_lo, s1, vcc_lo
	v_cndmask_b32_e32 v8, 0, v8, vcc_lo
	v_cmp_nlt_f64_e32 vcc_lo, 0x40900000, v[0:1]
	v_cndmask_b32_e64 v9, 0, v9, s1
	v_cmp_ngt_f64_e64 s1, 0xc090cc00, v[0:1]
	v_fma_f64 v[12:13], v[10:11], s[26:27], v[12:13]
	v_cvt_i32_f64_e32 v10, v[10:11]
	v_fma_f64 v[16:17], v[12:13], s[24:25], s[22:23]
	v_fma_f64 v[16:17], v[12:13], v[16:17], s[20:21]
	;; [unrolled: 1-line block ×9, first 2 shown]
	s_mov_b32 s2, 0x9999999a
	s_mov_b32 s3, 0x40059999
	v_fma_f64 v[16:17], v[12:13], v[16:17], 1.0
	v_fma_f64 v[12:13], v[12:13], v[16:17], 1.0
	v_ldexp_f64 v[10:11], v[12:13], v10
	v_mul_f64 v[10:11], v[10:11], s[2:3]
	v_cndmask_b32_e32 v11, 0x7ff00000, v11, vcc_lo
	s_and_b32 vcc_lo, s1, vcc_lo
	v_cndmask_b32_e32 v0, 0, v10, vcc_lo
	v_cndmask_b32_e64 v1, 0, v11, s1
	v_add_f64 v[8:9], v[8:9], v[0:1]
.LBB0_23:
	s_or_b32 exec_lo, exec_lo, s33
	s_mov_b32 s2, 0x92c72650
	s_mov_b32 s3, 0x3fc13a3a
	;; [unrolled: 1-line block ×3, first 2 shown]
	v_mul_f64 v[0:1], v[2:3], s[2:3]
	s_mov_b32 s2, 0x652b82fe
	s_mov_b32 s3, 0x3ff71547
	;; [unrolled: 1-line block ×3, first 2 shown]
	v_mul_f64 v[10:11], v[0:1], s[2:3]
	s_mov_b32 s2, 0xfefa39ef
	s_mov_b32 s3, 0xbfe62e42
	v_cmp_nlt_f64_e32 vcc_lo, 0x40900000, v[0:1]
	v_cmp_ngt_f64_e64 s1, 0xc090cc00, v[0:1]
	v_rndne_f64_e32 v[10:11], v[10:11]
	v_fma_f64 v[12:13], v[10:11], s[2:3], v[0:1]
	s_mov_b32 s2, 0x3b39803f
	s_mov_b32 s3, 0xbc7abc9e
	v_fma_f64 v[12:13], v[10:11], s[2:3], v[12:13]
	s_mov_b32 s2, 0xfca7ab0c
	s_mov_b32 s3, 0x3e928af3
	v_cvt_i32_f64_e32 v10, v[10:11]
	v_fma_f64 v[16:17], v[12:13], s[4:5], s[2:3]
	s_mov_b32 s2, 0x623fde64
	s_mov_b32 s3, 0x3ec71dee
	v_fma_f64 v[16:17], v[12:13], v[16:17], s[2:3]
	s_mov_b32 s2, 0x7c89e6b0
	s_mov_b32 s3, 0x3efa0199
	;; [unrolled: 3-line block ×9, first 2 shown]
	v_fma_f64 v[16:17], v[12:13], v[16:17], 1.0
	v_fma_f64 v[12:13], v[12:13], v[16:17], 1.0
	v_ldexp_f64 v[10:11], v[12:13], v10
	v_fma_f64 v[10:11], v[10:11], s[2:3], 1.0
	s_mov_b32 s2, 0xe2308c3a
	s_mov_b32 s3, 0x3e45798e
	v_cndmask_b32_e32 v11, 0x7ff00000, v11, vcc_lo
	s_and_b32 vcc_lo, s1, vcc_lo
	v_cndmask_b32_e32 v0, 0, v10, vcc_lo
	v_cndmask_b32_e64 v1, 0x3ff00000, v11, s1
	v_mul_f64 v[0:1], v[0:1], v[0:1]
	v_div_scale_f64 v[10:11], null, v[0:1], v[0:1], 1.0
	v_rcp_f64_e32 v[12:13], v[10:11]
	v_fma_f64 v[16:17], -v[10:11], v[12:13], 1.0
	v_fma_f64 v[12:13], v[12:13], v[16:17], v[12:13]
	v_fma_f64 v[16:17], -v[10:11], v[12:13], 1.0
	v_fma_f64 v[12:13], v[12:13], v[16:17], v[12:13]
	v_div_scale_f64 v[16:17], vcc_lo, 1.0, v[0:1], 1.0
	v_mul_f64 v[20:21], v[16:17], v[12:13]
	v_fma_f64 v[10:11], -v[10:11], v[20:21], v[16:17]
	v_div_fmas_f64 v[10:11], v[10:11], v[12:13], v[20:21]
	v_div_fixup_f64 v[10:11], v[10:11], v[0:1], 1.0
	v_add_f64 v[0:1], v[6:7], v[8:9]
	v_div_scale_f64 v[6:7], null, v[0:1], v[0:1], 1.0
	v_rcp_f64_e32 v[8:9], v[6:7]
	v_fma_f64 v[12:13], -v[6:7], v[8:9], 1.0
	v_fma_f64 v[8:9], v[8:9], v[12:13], v[8:9]
	v_fma_f64 v[12:13], -v[6:7], v[8:9], 1.0
	v_fma_f64 v[8:9], v[8:9], v[12:13], v[8:9]
	v_div_scale_f64 v[12:13], vcc_lo, 1.0, v[0:1], 1.0
	v_mul_f64 v[16:17], v[12:13], v[8:9]
	v_fma_f64 v[6:7], -v[6:7], v[16:17], v[12:13]
	v_div_fmas_f64 v[6:7], v[6:7], v[8:9], v[16:17]
	v_div_fixup_f64 v[0:1], v[6:7], v[0:1], 1.0
	v_add_f64 v[6:7], v[10:11], -v[88:89]
	v_div_scale_f64 v[8:9], null, v[0:1], v[0:1], v[6:7]
	v_rcp_f64_e32 v[12:13], v[8:9]
	v_fma_f64 v[16:17], -v[8:9], v[12:13], 1.0
	v_fma_f64 v[12:13], v[12:13], v[16:17], v[12:13]
	v_fma_f64 v[16:17], -v[8:9], v[12:13], 1.0
	v_fma_f64 v[12:13], v[12:13], v[16:17], v[12:13]
	v_div_scale_f64 v[16:17], vcc_lo, v[6:7], v[0:1], v[6:7]
	v_mul_f64 v[20:21], v[16:17], v[12:13]
	v_fma_f64 v[8:9], -v[8:9], v[20:21], v[16:17]
	v_div_fmas_f64 v[8:9], v[8:9], v[12:13], v[20:21]
	v_div_fixup_f64 v[6:7], v[8:9], v[0:1], v[6:7]
	v_div_scale_f64 v[8:9], null, v[0:1], v[0:1], -1.0
	v_rcp_f64_e32 v[12:13], v[8:9]
	v_fma_f64 v[16:17], -v[8:9], v[12:13], 1.0
	v_fma_f64 v[12:13], v[12:13], v[16:17], v[12:13]
	v_fma_f64 v[16:17], -v[8:9], v[12:13], 1.0
	v_fma_f64 v[12:13], v[12:13], v[16:17], v[12:13]
	v_div_scale_f64 v[16:17], vcc_lo, -1.0, v[0:1], -1.0
	v_mul_f64 v[20:21], v[16:17], v[12:13]
	v_fma_f64 v[8:9], -v[8:9], v[20:21], v[16:17]
	v_div_fmas_f64 v[8:9], v[8:9], v[12:13], v[20:21]
                                        ; implicit-def: $vgpr12_vgpr13
	v_div_fixup_f64 v[8:9], v[8:9], v[0:1], -1.0
	v_cmp_ngt_f64_e64 s1, |v[8:9]|, s[2:3]
	s_and_saveexec_b32 s2, s1
	s_xor_b32 s1, exec_lo, s2
; %bb.24:
	v_mul_f64 v[12:13], s[12:13], v[6:7]
                                        ; implicit-def: $vgpr8_vgpr9
                                        ; implicit-def: $vgpr6_vgpr7
; %bb.25:
	s_andn2_saveexec_b32 s2, s1
	s_cbranch_execz .LBB0_27
; %bb.26:
	v_mul_f64 v[0:1], s[12:13], v[8:9]
	s_mov_b32 s4, 0x652b82fe
	s_mov_b32 s5, 0x3ff71547
	;; [unrolled: 1-line block ×4, first 2 shown]
	v_mul_f64 v[12:13], v[0:1], s[4:5]
	s_mov_b32 s4, 0xfefa39ef
	s_mov_b32 s5, 0xbfe62e42
	v_cmp_nlt_f64_e32 vcc_lo, 0x40900000, v[0:1]
	v_cmp_ngt_f64_e64 s1, 0xc090cc00, v[0:1]
	v_rndne_f64_e32 v[12:13], v[12:13]
	v_fma_f64 v[16:17], v[12:13], s[4:5], v[0:1]
	s_mov_b32 s4, 0x3b39803f
	s_mov_b32 s5, 0xbc7abc9e
	v_cvt_i32_f64_e32 v24, v[12:13]
	v_fma_f64 v[16:17], v[12:13], s[4:5], v[16:17]
	s_mov_b32 s4, 0xfca7ab0c
	s_mov_b32 s5, 0x3e928af3
	v_fma_f64 v[20:21], v[16:17], s[6:7], s[4:5]
	s_mov_b32 s4, 0x623fde64
	s_mov_b32 s5, 0x3ec71dee
	;; [unrolled: 3-line block ×9, first 2 shown]
	v_fma_f64 v[20:21], v[16:17], v[20:21], s[4:5]
	v_fma_f64 v[20:21], v[16:17], v[20:21], 1.0
	v_fma_f64 v[12:13], v[16:17], v[20:21], 1.0
	v_ldexp_f64 v[12:13], v[12:13], v24
	v_add_f64 v[12:13], v[12:13], -1.0
	v_cndmask_b32_e32 v13, 0x7ff00000, v13, vcc_lo
	s_and_b32 vcc_lo, s1, vcc_lo
	v_cndmask_b32_e32 v0, 0, v12, vcc_lo
	v_cndmask_b32_e64 v1, 0xbff00000, v13, s1
	v_mul_f64 v[0:1], v[6:7], v[0:1]
	v_div_scale_f64 v[6:7], null, v[8:9], v[8:9], v[0:1]
	v_rcp_f64_e32 v[12:13], v[6:7]
	v_fma_f64 v[16:17], -v[6:7], v[12:13], 1.0
	v_fma_f64 v[12:13], v[12:13], v[16:17], v[12:13]
	v_fma_f64 v[16:17], -v[6:7], v[12:13], 1.0
	v_fma_f64 v[12:13], v[12:13], v[16:17], v[12:13]
	v_div_scale_f64 v[16:17], vcc_lo, v[0:1], v[8:9], v[0:1]
	v_mul_f64 v[20:21], v[16:17], v[12:13]
	v_fma_f64 v[6:7], -v[6:7], v[20:21], v[16:17]
	v_div_fmas_f64 v[6:7], v[6:7], v[12:13], v[20:21]
	v_div_fixup_f64 v[12:13], v[6:7], v[8:9], v[0:1]
.LBB0_27:
	s_or_b32 exec_lo, exec_lo, s2
	v_add_f64 v[0:1], v[88:89], v[12:13]
	v_mov_b32_e32 v6, 0
	v_mov_b32_e32 v7, 0
	;; [unrolled: 1-line block ×10, first 2 shown]
	global_store_dwordx2 v[94:95], v[0:1], off
	s_and_saveexec_b32 s33, s0
	s_cbranch_execz .LBB0_29
; %bb.28:
	s_mov_b32 s0, 0xa3d70a4
	s_mov_b32 s1, 0x4042e3d7
	s_mov_b32 s30, 0x652b82fe
	v_add_f64 v[6:7], v[2:3], s[0:1]
	s_mov_b32 s0, 0xcb923a2a
	s_mov_b32 s1, 0x3fcf487f
	;; [unrolled: 1-line block ×3, first 2 shown]
	v_mul_f64 v[0:1], v[2:3], s[0:1]
	s_mov_b32 s28, 0xfefa39ef
	s_mov_b32 s29, 0xbfe62e42
	;; [unrolled: 1-line block ×21, first 2 shown]
	v_mul_f64 v[8:9], v[0:1], s[30:31]
	s_mov_b32 s3, 0x3fe00000
	v_cmp_nlt_f64_e32 vcc_lo, 0x40900000, v[0:1]
	v_cmp_ngt_f64_e64 s0, 0xc090cc00, v[0:1]
	v_mov_b32_e32 v24, 0x7fa1a0cf
	v_mov_b32_e32 v25, 0xbf858b82
	v_rndne_f64_e32 v[8:9], v[8:9]
	v_fma_f64 v[12:13], v[8:9], s[28:29], v[0:1]
	v_fma_f64 v[12:13], v[8:9], s[26:27], v[12:13]
	v_cvt_i32_f64_e32 v8, v[8:9]
	v_fma_f64 v[16:17], v[12:13], s[24:25], s[22:23]
	v_fma_f64 v[16:17], v[12:13], v[16:17], s[20:21]
	;; [unrolled: 1-line block ×9, first 2 shown]
	v_fma_f64 v[16:17], v[12:13], v[16:17], 1.0
	v_fma_f64 v[12:13], v[12:13], v[16:17], 1.0
	v_ldexp_f64 v[8:9], v[12:13], v8
	v_mul_f64 v[8:9], 0xc0d8d500, v[8:9]
	v_cndmask_b32_e32 v9, 0xfff00000, v9, vcc_lo
	s_and_b32 vcc_lo, s0, vcc_lo
	v_cndmask_b32_e32 v0, 0, v8, vcc_lo
	v_cndmask_b32_e64 v1, 0x80000000, v9, s0
	s_mov_b32 s0, 0x1bef49cf
	s_mov_b32 s1, 0xbfa67b5f
	v_mul_f64 v[8:9], v[2:3], s[0:1]
	s_mov_b32 s0, 0xb28be17e
	s_mov_b32 s1, 0x3edd245b
	v_mul_f64 v[12:13], v[8:9], s[30:31]
	v_cmp_nlt_f64_e32 vcc_lo, 0x40900000, v[8:9]
	v_rndne_f64_e32 v[12:13], v[12:13]
	v_fma_f64 v[16:17], v[12:13], s[28:29], v[8:9]
	v_fma_f64 v[16:17], v[12:13], s[26:27], v[16:17]
	v_cvt_i32_f64_e32 v12, v[12:13]
	v_fma_f64 v[20:21], v[16:17], s[24:25], s[22:23]
	v_fma_f64 v[20:21], v[16:17], v[20:21], s[20:21]
	v_fma_f64 v[20:21], v[16:17], v[20:21], s[18:19]
	v_fma_f64 v[20:21], v[16:17], v[20:21], s[16:17]
	v_fma_f64 v[20:21], v[16:17], v[20:21], s[14:15]
	v_fma_f64 v[20:21], v[16:17], v[20:21], s[8:9]
	v_fma_f64 v[20:21], v[16:17], v[20:21], s[6:7]
	v_fma_f64 v[20:21], v[16:17], v[20:21], s[4:5]
	v_fma_f64 v[20:21], v[16:17], v[20:21], s[2:3]
	v_fma_f64 v[20:21], v[16:17], v[20:21], 1.0
	v_fma_f64 v[16:17], v[16:17], v[20:21], 1.0
	v_ldexp_f64 v[12:13], v[16:17], v12
	v_mul_f64 v[12:13], v[12:13], s[0:1]
	v_cmp_ngt_f64_e64 s0, 0xc090cc00, v[8:9]
	v_cndmask_b32_e32 v13, 0x7ff00000, v13, vcc_lo
	s_and_b32 vcc_lo, s0, vcc_lo
	v_cndmask_b32_e32 v8, 0, v12, vcc_lo
	v_cndmask_b32_e64 v9, 0, v13, s0
	s_mov_b32 s0, 0x8b439581
	s_mov_b32 s1, 0x3fd3e76c
	v_add_f64 v[0:1], v[0:1], -v[8:9]
	v_mul_f64 v[8:9], v[2:3], s[0:1]
	s_mov_b32 s0, 0x45c3e873
	s_mov_b32 s1, 0x422767c9
	v_mul_f64 v[6:7], v[6:7], v[0:1]
	v_mul_f64 v[0:1], v[8:9], s[30:31]
	v_cmp_nlt_f64_e32 vcc_lo, 0x40900000, v[8:9]
	v_rndne_f64_e32 v[0:1], v[0:1]
	v_fma_f64 v[12:13], v[0:1], s[28:29], v[8:9]
	v_fma_f64 v[12:13], v[0:1], s[26:27], v[12:13]
	v_cvt_i32_f64_e32 v0, v[0:1]
	v_fma_f64 v[16:17], v[12:13], s[24:25], s[22:23]
	v_fma_f64 v[16:17], v[12:13], v[16:17], s[20:21]
	;; [unrolled: 1-line block ×9, first 2 shown]
	v_fma_f64 v[16:17], v[12:13], v[16:17], 1.0
	v_fma_f64 v[12:13], v[12:13], v[16:17], 1.0
	v_ldexp_f64 v[0:1], v[12:13], v0
	v_fma_f64 v[0:1], v[0:1], s[0:1], 1.0
	v_cmp_ngt_f64_e64 s0, 0xc090cc00, v[8:9]
	v_cndmask_b32_e32 v1, 0x7ff00000, v1, vcc_lo
	s_and_b32 vcc_lo, s0, vcc_lo
	v_cndmask_b32_e32 v0, 0, v0, vcc_lo
	v_cndmask_b32_e64 v1, 0x3ff00000, v1, s0
	v_div_scale_f64 v[8:9], null, v[0:1], v[0:1], v[6:7]
	v_rcp_f64_e32 v[12:13], v[8:9]
	v_fma_f64 v[16:17], -v[8:9], v[12:13], 1.0
	v_fma_f64 v[12:13], v[12:13], v[16:17], v[12:13]
	v_fma_f64 v[16:17], -v[8:9], v[12:13], 1.0
	v_fma_f64 v[12:13], v[12:13], v[16:17], v[12:13]
	v_div_scale_f64 v[16:17], vcc_lo, v[6:7], v[0:1], v[6:7]
	v_mul_f64 v[20:21], v[16:17], v[12:13]
	v_fma_f64 v[8:9], -v[8:9], v[20:21], v[16:17]
	v_mov_b32_e32 v16, 0x2eb1c433
	v_mov_b32_e32 v17, 0xbfc1a36e
	v_div_fmas_f64 v[8:9], v[8:9], v[12:13], v[20:21]
	v_mov_b32_e32 v12, 0xdd052935
	v_mov_b32_e32 v13, 0x3f98d25e
	v_div_fixup_f64 v[6:7], v[8:9], v[0:1], v[6:7]
	v_mov_b32_e32 v8, 0x7fbd086c
	v_mov_b32_e32 v9, 0x3f703945
.LBB0_29:
	s_or_b32 exec_lo, exec_lo, s33
	v_mul_f64 v[0:1], v[2:3], v[24:25]
	s_mov_b32 s30, 0x652b82fe
	s_mov_b32 s31, 0x3ff71547
	;; [unrolled: 1-line block ×21, first 2 shown]
	v_mul_f64 v[20:21], v[0:1], s[30:31]
	s_mov_b32 s5, 0x3fc55555
	s_mov_b32 s2, 11
	;; [unrolled: 1-line block ×3, first 2 shown]
	v_cmp_nlt_f64_e32 vcc_lo, 0x40900000, v[0:1]
	v_cmp_ngt_f64_e64 s0, 0xc090cc00, v[0:1]
	v_rndne_f64_e32 v[20:21], v[20:21]
	v_fma_f64 v[24:25], v[20:21], s[28:29], v[0:1]
	v_mul_f64 v[0:1], v[2:3], v[16:17]
	v_fma_f64 v[24:25], v[20:21], s[26:27], v[24:25]
	v_cvt_i32_f64_e32 v20, v[20:21]
	v_mul_f64 v[16:17], v[0:1], s[30:31]
	v_fma_f64 v[26:27], v[24:25], s[24:25], s[22:23]
	v_rndne_f64_e32 v[16:17], v[16:17]
	v_fma_f64 v[26:27], v[24:25], v[26:27], s[20:21]
	v_fma_f64 v[26:27], v[24:25], v[26:27], s[18:19]
	;; [unrolled: 1-line block ×8, first 2 shown]
	v_fma_f64 v[26:27], v[24:25], v[26:27], 1.0
	v_fma_f64 v[24:25], v[24:25], v[26:27], 1.0
	v_ldexp_f64 v[20:21], v[24:25], v20
	v_mul_f64 v[12:13], v[20:21], v[12:13]
	v_fma_f64 v[20:21], v[16:17], s[28:29], v[0:1]
	v_cndmask_b32_e32 v13, 0x7ff00000, v13, vcc_lo
	v_fma_f64 v[20:21], v[16:17], s[26:27], v[20:21]
	v_cvt_i32_f64_e32 v16, v[16:17]
	s_and_b32 vcc_lo, s0, vcc_lo
	v_cndmask_b32_e32 v12, 0, v12, vcc_lo
	v_cmp_nlt_f64_e32 vcc_lo, 0x40900000, v[0:1]
	v_cndmask_b32_e64 v13, 0, v13, s0
	v_cmp_ngt_f64_e64 s0, 0xc090cc00, v[0:1]
	v_fma_f64 v[24:25], v[20:21], s[24:25], s[22:23]
	v_fma_f64 v[24:25], v[20:21], v[24:25], s[20:21]
	;; [unrolled: 1-line block ×9, first 2 shown]
	v_fma_f64 v[24:25], v[20:21], v[24:25], 1.0
	v_fma_f64 v[20:21], v[20:21], v[24:25], 1.0
	v_ldexp_f64 v[16:17], v[20:21], v16
	v_fma_f64 v[8:9], v[16:17], v[8:9], 1.0
	v_cndmask_b32_e32 v9, 0x7ff00000, v9, vcc_lo
	s_and_b32 vcc_lo, s0, vcc_lo
	v_cndmask_b32_e32 v0, 0, v8, vcc_lo
	v_cndmask_b32_e64 v1, 0x3ff00000, v9, s0
	s_mov_b32 s0, 0xe2308c3a
	s_mov_b32 s1, 0x3e45798e
	v_div_scale_f64 v[8:9], null, v[0:1], v[0:1], v[12:13]
	v_rcp_f64_e32 v[16:17], v[8:9]
	v_fma_f64 v[20:21], -v[8:9], v[16:17], 1.0
	v_fma_f64 v[16:17], v[16:17], v[20:21], v[16:17]
	v_fma_f64 v[20:21], -v[8:9], v[16:17], 1.0
	v_fma_f64 v[16:17], v[16:17], v[20:21], v[16:17]
	v_div_scale_f64 v[20:21], vcc_lo, v[12:13], v[0:1], v[12:13]
	v_mul_f64 v[24:25], v[20:21], v[16:17]
	v_fma_f64 v[8:9], -v[8:9], v[24:25], v[20:21]
	v_div_fmas_f64 v[8:9], v[8:9], v[16:17], v[24:25]
	v_div_fixup_f64 v[0:1], v[8:9], v[0:1], v[12:13]
	v_add_f64 v[0:1], v[6:7], v[0:1]
	v_div_scale_f64 v[6:7], null, v[0:1], v[0:1], 1.0
	v_rcp_f64_e32 v[8:9], v[6:7]
	v_fma_f64 v[12:13], -v[6:7], v[8:9], 1.0
	v_fma_f64 v[8:9], v[8:9], v[12:13], v[8:9]
	v_fma_f64 v[12:13], -v[6:7], v[8:9], 1.0
	v_fma_f64 v[8:9], v[8:9], v[12:13], v[8:9]
	v_div_scale_f64 v[12:13], vcc_lo, 1.0, v[0:1], 1.0
	v_mul_f64 v[16:17], v[12:13], v[8:9]
	v_fma_f64 v[6:7], -v[6:7], v[16:17], v[12:13]
	v_div_fmas_f64 v[6:7], v[6:7], v[8:9], v[16:17]
	v_div_fixup_f64 v[0:1], v[6:7], v[0:1], 1.0
	v_add_f64 v[6:7], v[10:11], -v[14:15]
	v_div_scale_f64 v[8:9], null, v[0:1], v[0:1], v[6:7]
	v_rcp_f64_e32 v[10:11], v[8:9]
	v_fma_f64 v[12:13], -v[8:9], v[10:11], 1.0
	v_fma_f64 v[10:11], v[10:11], v[12:13], v[10:11]
	v_fma_f64 v[12:13], -v[8:9], v[10:11], 1.0
	v_fma_f64 v[10:11], v[10:11], v[12:13], v[10:11]
	v_div_scale_f64 v[12:13], vcc_lo, v[6:7], v[0:1], v[6:7]
	v_mul_f64 v[16:17], v[12:13], v[10:11]
	v_fma_f64 v[8:9], -v[8:9], v[16:17], v[12:13]
	v_div_fmas_f64 v[8:9], v[8:9], v[10:11], v[16:17]
	v_div_fixup_f64 v[6:7], v[8:9], v[0:1], v[6:7]
	v_div_scale_f64 v[8:9], null, v[0:1], v[0:1], -1.0
	v_rcp_f64_e32 v[10:11], v[8:9]
	v_fma_f64 v[12:13], -v[8:9], v[10:11], 1.0
	v_fma_f64 v[10:11], v[10:11], v[12:13], v[10:11]
	v_fma_f64 v[12:13], -v[8:9], v[10:11], 1.0
	v_fma_f64 v[10:11], v[10:11], v[12:13], v[10:11]
	v_div_scale_f64 v[12:13], vcc_lo, -1.0, v[0:1], -1.0
	v_mul_f64 v[16:17], v[12:13], v[10:11]
	v_fma_f64 v[8:9], -v[8:9], v[16:17], v[12:13]
	v_div_fmas_f64 v[8:9], v[8:9], v[10:11], v[16:17]
                                        ; implicit-def: $vgpr10_vgpr11
	v_div_fixup_f64 v[8:9], v[8:9], v[0:1], -1.0
	v_cmp_ngt_f64_e64 s0, |v[8:9]|, s[0:1]
	s_and_saveexec_b32 s1, s0
	s_xor_b32 s0, exec_lo, s1
; %bb.30:
	v_mul_f64 v[10:11], s[12:13], v[6:7]
                                        ; implicit-def: $vgpr8_vgpr9
                                        ; implicit-def: $vgpr6_vgpr7
; %bb.31:
	s_andn2_saveexec_b32 s1, s0
	s_cbranch_execz .LBB0_33
; %bb.32:
	v_mul_f64 v[0:1], s[12:13], v[8:9]
	s_mov_b32 s2, 0x652b82fe
	s_mov_b32 s3, 0x3ff71547
	;; [unrolled: 1-line block ×4, first 2 shown]
	v_mul_f64 v[10:11], v[0:1], s[2:3]
	s_mov_b32 s2, 0xfefa39ef
	s_mov_b32 s3, 0xbfe62e42
	v_cmp_nlt_f64_e32 vcc_lo, 0x40900000, v[0:1]
	v_cmp_ngt_f64_e64 s0, 0xc090cc00, v[0:1]
	v_rndne_f64_e32 v[10:11], v[10:11]
	v_fma_f64 v[12:13], v[10:11], s[2:3], v[0:1]
	s_mov_b32 s2, 0x3b39803f
	s_mov_b32 s3, 0xbc7abc9e
	v_cvt_i32_f64_e32 v20, v[10:11]
	v_fma_f64 v[12:13], v[10:11], s[2:3], v[12:13]
	s_mov_b32 s2, 0xfca7ab0c
	s_mov_b32 s3, 0x3e928af3
	v_fma_f64 v[16:17], v[12:13], s[4:5], s[2:3]
	s_mov_b32 s2, 0x623fde64
	s_mov_b32 s3, 0x3ec71dee
	;; [unrolled: 3-line block ×9, first 2 shown]
	v_fma_f64 v[16:17], v[12:13], v[16:17], s[2:3]
	v_fma_f64 v[16:17], v[12:13], v[16:17], 1.0
	v_fma_f64 v[10:11], v[12:13], v[16:17], 1.0
	v_ldexp_f64 v[10:11], v[10:11], v20
	v_add_f64 v[10:11], v[10:11], -1.0
	v_cndmask_b32_e32 v11, 0x7ff00000, v11, vcc_lo
	s_and_b32 vcc_lo, s0, vcc_lo
	v_cndmask_b32_e32 v0, 0, v10, vcc_lo
	v_cndmask_b32_e64 v1, 0xbff00000, v11, s0
	v_mul_f64 v[0:1], v[6:7], v[0:1]
	v_div_scale_f64 v[6:7], null, v[8:9], v[8:9], v[0:1]
	v_rcp_f64_e32 v[10:11], v[6:7]
	v_fma_f64 v[12:13], -v[6:7], v[10:11], 1.0
	v_fma_f64 v[10:11], v[10:11], v[12:13], v[10:11]
	v_fma_f64 v[12:13], -v[6:7], v[10:11], 1.0
	v_fma_f64 v[10:11], v[10:11], v[12:13], v[10:11]
	v_div_scale_f64 v[12:13], vcc_lo, v[0:1], v[8:9], v[0:1]
	v_mul_f64 v[16:17], v[12:13], v[10:11]
	v_fma_f64 v[6:7], -v[6:7], v[16:17], v[12:13]
	v_div_fmas_f64 v[6:7], v[6:7], v[10:11], v[16:17]
	v_div_fixup_f64 v[10:11], v[6:7], v[8:9], v[0:1]
.LBB0_33:
	s_or_b32 exec_lo, exec_lo, s1
	v_add_f64 v[0:1], v[14:15], v[10:11]
	s_mov_b32 s0, 0x11111105
	s_mov_b32 s1, 0xbfc11111
	;; [unrolled: 1-line block ×21, first 2 shown]
	global_store_dwordx2 v[86:87], v[0:1], off
	v_mul_f64 v[0:1], v[2:3], s[0:1]
	s_mov_b32 s5, 0x3fc55555
	s_mov_b32 s0, 0x9ad86a7a
	;; [unrolled: 1-line block ×3, first 2 shown]
	v_mul_f64 v[4:5], v[0:1], s[30:31]
	v_rndne_f64_e32 v[4:5], v[4:5]
	v_fma_f64 v[6:7], v[4:5], s[22:23], v[0:1]
	v_fma_f64 v[6:7], v[4:5], s[16:17], v[6:7]
	v_cvt_i32_f64_e32 v4, v[4:5]
	v_fma_f64 v[8:9], v[6:7], s[18:19], s[8:9]
	v_fma_f64 v[8:9], v[6:7], v[8:9], s[28:29]
	;; [unrolled: 1-line block ×9, first 2 shown]
	v_fma_f64 v[8:9], v[6:7], v[8:9], 1.0
	v_fma_f64 v[6:7], v[6:7], v[8:9], 1.0
	v_ldexp_f64 v[4:5], v[6:7], v4
	v_fma_f64 v[4:5], v[4:5], s[0:1], 1.0
	v_cmp_ngt_f64_e64 s0, 0xc090cc00, v[0:1]
	v_div_scale_f64 v[6:7], null, v[4:5], v[4:5], 1.0
	v_rcp_f64_e32 v[8:9], v[6:7]
	v_fma_f64 v[10:11], -v[6:7], v[8:9], 1.0
	v_fma_f64 v[8:9], v[8:9], v[10:11], v[8:9]
	v_fma_f64 v[10:11], -v[6:7], v[8:9], 1.0
	v_fma_f64 v[8:9], v[8:9], v[10:11], v[8:9]
	v_div_scale_f64 v[10:11], vcc_lo, 1.0, v[4:5], 1.0
	v_mul_f64 v[12:13], v[10:11], v[8:9]
	v_fma_f64 v[6:7], -v[6:7], v[12:13], v[10:11]
	v_div_fmas_f64 v[6:7], v[6:7], v[8:9], v[12:13]
	v_cmp_nlt_f64_e32 vcc_lo, 0x40900000, v[0:1]
	v_div_scale_f64 v[0:1], null, 0xc02a0000, 0xc02a0000, v[2:3]
	v_div_fixup_f64 v[4:5], v[6:7], v[4:5], 1.0
	v_rcp_f64_e32 v[6:7], v[0:1]
	v_cndmask_b32_e32 v5, 0, v5, vcc_lo
	s_and_b32 vcc_lo, s0, vcc_lo
	v_cndmask_b32_e32 v4, 0, v4, vcc_lo
	v_fma_f64 v[8:9], -v[0:1], v[6:7], 1.0
	v_cndmask_b32_e64 v5, 0x3ff00000, v5, s0
	s_mov_b32 s0, 0x9d89d89e
	s_mov_b32 s1, 0xc00589d8
	v_add_f64 v[4:5], v[4:5], -v[116:117]
	v_fma_f64 v[6:7], v[6:7], v[8:9], v[6:7]
	v_fma_f64 v[8:9], -v[0:1], v[6:7], 1.0
	v_fma_f64 v[6:7], v[6:7], v[8:9], v[6:7]
	v_div_scale_f64 v[8:9], vcc_lo, v[2:3], 0xc02a0000, v[2:3]
	v_mul_f64 v[10:11], v[8:9], v[6:7]
	v_fma_f64 v[0:1], -v[0:1], v[10:11], v[8:9]
	v_div_fmas_f64 v[0:1], v[0:1], v[6:7], v[10:11]
	v_div_fixup_f64 v[0:1], v[0:1], 0xc02a0000, v[2:3]
	v_add_f64 v[0:1], v[0:1], s[0:1]
	s_mov_b32 s0, 0x66666666
	s_mov_b32 s1, 0x3ff66666
	v_mul_f64 v[6:7], v[0:1], s[30:31]
	v_rndne_f64_e32 v[6:7], v[6:7]
	v_fma_f64 v[8:9], v[6:7], s[22:23], v[0:1]
	v_fma_f64 v[8:9], v[6:7], s[16:17], v[8:9]
	v_cvt_i32_f64_e32 v6, v[6:7]
	v_fma_f64 v[10:11], v[8:9], s[18:19], s[8:9]
	v_fma_f64 v[10:11], v[8:9], v[10:11], s[28:29]
	;; [unrolled: 1-line block ×9, first 2 shown]
	v_fma_f64 v[10:11], v[8:9], v[10:11], 1.0
	v_fma_f64 v[8:9], v[8:9], v[10:11], 1.0
	v_ldexp_f64 v[6:7], v[8:9], v6
	v_add_f64 v[6:7], v[6:7], 1.0
	v_div_scale_f64 v[8:9], null, v[6:7], v[6:7], s[0:1]
	v_rcp_f64_e32 v[10:11], v[8:9]
	v_fma_f64 v[12:13], -v[8:9], v[10:11], 1.0
	v_fma_f64 v[10:11], v[10:11], v[12:13], v[10:11]
	v_fma_f64 v[12:13], -v[8:9], v[10:11], 1.0
	v_fma_f64 v[10:11], v[10:11], v[12:13], v[10:11]
	v_div_scale_f64 v[12:13], vcc_lo, s[0:1], v[6:7], s[0:1]
	v_mul_f64 v[16:17], v[12:13], v[10:11]
	v_fma_f64 v[8:9], -v[8:9], v[16:17], v[12:13]
	v_div_fmas_f64 v[8:9], v[8:9], v[10:11], v[16:17]
	v_cmp_nlt_f64_e32 vcc_lo, 0x40900000, v[0:1]
	v_div_fixup_f64 v[6:7], v[8:9], v[6:7], s[0:1]
	v_add_f64 v[6:7], 0x3fd00000, v[6:7]
	v_cndmask_b32_e32 v6, 0, v6, vcc_lo
	v_cndmask_b32_e32 v7, 0x3fd00000, v7, vcc_lo
	v_cmp_ngt_f64_e32 vcc_lo, 0xc090cc00, v[0:1]
	v_add_f64 v[0:1], v[38:39], 1.0
	v_cndmask_b32_e32 v7, 0x3ffa6666, v7, vcc_lo
	v_mul_f64 v[8:9], v[0:1], s[30:31]
	v_cndmask_b32_e32 v6, 0x66666666, v6, vcc_lo
	v_rndne_f64_e32 v[8:9], v[8:9]
	v_fma_f64 v[10:11], v[8:9], s[22:23], v[0:1]
	v_fma_f64 v[10:11], v[8:9], s[16:17], v[10:11]
	v_cvt_i32_f64_e32 v8, v[8:9]
	v_fma_f64 v[12:13], v[10:11], s[18:19], s[8:9]
	v_fma_f64 v[12:13], v[10:11], v[12:13], s[28:29]
	;; [unrolled: 1-line block ×9, first 2 shown]
	v_fma_f64 v[12:13], v[10:11], v[12:13], 1.0
	v_fma_f64 v[10:11], v[10:11], v[12:13], 1.0
	v_ldexp_f64 v[8:9], v[10:11], v8
	v_add_f64 v[8:9], v[8:9], 1.0
	v_div_scale_f64 v[10:11], null, v[8:9], v[8:9], s[0:1]
	v_rcp_f64_e32 v[12:13], v[10:11]
	v_fma_f64 v[16:17], -v[10:11], v[12:13], 1.0
	v_fma_f64 v[12:13], v[12:13], v[16:17], v[12:13]
	v_fma_f64 v[16:17], -v[10:11], v[12:13], 1.0
	v_fma_f64 v[12:13], v[12:13], v[16:17], v[12:13]
	v_div_scale_f64 v[16:17], vcc_lo, s[0:1], v[8:9], s[0:1]
	v_mul_f64 v[20:21], v[16:17], v[12:13]
	v_fma_f64 v[10:11], -v[10:11], v[20:21], v[16:17]
	v_div_fmas_f64 v[10:11], v[10:11], v[12:13], v[20:21]
	v_cmp_nlt_f64_e32 vcc_lo, 0x40900000, v[0:1]
	v_div_fixup_f64 v[8:9], v[10:11], v[8:9], s[0:1]
	v_cndmask_b32_e32 v8, 0, v8, vcc_lo
	v_cndmask_b32_e32 v9, 0, v9, vcc_lo
	v_cmp_ngt_f64_e32 vcc_lo, 0xc090cc00, v[0:1]
	v_add_f64 v[0:1], 0x40040000, -v[74:75]
	v_cndmask_b32_e32 v9, 0x3ff66666, v9, vcc_lo
	v_mul_f64 v[10:11], v[0:1], s[30:31]
	v_cndmask_b32_e32 v8, 0x66666666, v8, vcc_lo
	v_cmp_ngt_f64_e64 s0, 0xc090cc00, v[0:1]
	v_rndne_f64_e32 v[10:11], v[10:11]
	v_fma_f64 v[12:13], v[10:11], s[22:23], v[0:1]
	v_fma_f64 v[12:13], v[10:11], s[16:17], v[12:13]
	v_cvt_i32_f64_e32 v10, v[10:11]
	v_fma_f64 v[16:17], v[12:13], s[18:19], s[8:9]
	v_fma_f64 v[16:17], v[12:13], v[16:17], s[28:29]
	;; [unrolled: 1-line block ×9, first 2 shown]
	v_fma_f64 v[16:17], v[12:13], v[16:17], 1.0
	v_fma_f64 v[12:13], v[12:13], v[16:17], 1.0
	v_ldexp_f64 v[10:11], v[12:13], v10
	v_add_f64 v[10:11], v[10:11], 1.0
	v_div_scale_f64 v[12:13], null, v[10:11], v[10:11], 1.0
	v_rcp_f64_e32 v[16:17], v[12:13]
	v_fma_f64 v[20:21], -v[12:13], v[16:17], 1.0
	v_fma_f64 v[16:17], v[16:17], v[20:21], v[16:17]
	v_fma_f64 v[20:21], -v[12:13], v[16:17], 1.0
	v_fma_f64 v[16:17], v[16:17], v[20:21], v[16:17]
	v_div_scale_f64 v[20:21], vcc_lo, 1.0, v[10:11], 1.0
	v_mul_f64 v[24:25], v[20:21], v[16:17]
	v_fma_f64 v[12:13], -v[12:13], v[24:25], v[20:21]
	v_div_fmas_f64 v[12:13], v[12:13], v[16:17], v[24:25]
	v_cmp_nlt_f64_e32 vcc_lo, 0x40900000, v[0:1]
	v_div_fixup_f64 v[10:11], v[12:13], v[10:11], 1.0
	v_cndmask_b32_e32 v11, 0, v11, vcc_lo
	s_and_b32 vcc_lo, s0, vcc_lo
	v_cndmask_b32_e32 v0, 0, v10, vcc_lo
	v_cndmask_b32_e64 v1, 0x3ff00000, v11, s0
	s_mov_b32 s0, 0xe2308c3a
	s_mov_b32 s1, 0x3e45798e
	v_fma_f64 v[0:1], v[8:9], v[6:7], v[0:1]
	v_div_scale_f64 v[6:7], null, v[0:1], v[0:1], v[4:5]
	v_rcp_f64_e32 v[8:9], v[6:7]
	v_fma_f64 v[10:11], -v[6:7], v[8:9], 1.0
	v_fma_f64 v[8:9], v[8:9], v[10:11], v[8:9]
	v_fma_f64 v[10:11], -v[6:7], v[8:9], 1.0
	v_fma_f64 v[8:9], v[8:9], v[10:11], v[8:9]
	v_div_scale_f64 v[10:11], vcc_lo, v[4:5], v[0:1], v[4:5]
	v_mul_f64 v[12:13], v[10:11], v[8:9]
	v_fma_f64 v[6:7], -v[6:7], v[12:13], v[10:11]
	v_div_fmas_f64 v[6:7], v[6:7], v[8:9], v[12:13]
	v_div_fixup_f64 v[4:5], v[6:7], v[0:1], v[4:5]
	v_div_scale_f64 v[6:7], null, v[0:1], v[0:1], -1.0
	v_rcp_f64_e32 v[8:9], v[6:7]
	v_fma_f64 v[10:11], -v[6:7], v[8:9], 1.0
	v_fma_f64 v[8:9], v[8:9], v[10:11], v[8:9]
	v_fma_f64 v[10:11], -v[6:7], v[8:9], 1.0
	v_fma_f64 v[8:9], v[8:9], v[10:11], v[8:9]
	v_div_scale_f64 v[10:11], vcc_lo, -1.0, v[0:1], -1.0
	v_mul_f64 v[12:13], v[10:11], v[8:9]
	v_fma_f64 v[6:7], -v[6:7], v[12:13], v[10:11]
	v_div_fmas_f64 v[6:7], v[6:7], v[8:9], v[12:13]
                                        ; implicit-def: $vgpr8_vgpr9
	v_div_fixup_f64 v[6:7], v[6:7], v[0:1], -1.0
	v_cmp_ngt_f64_e64 s0, |v[6:7]|, s[0:1]
	s_and_saveexec_b32 s1, s0
	s_xor_b32 s0, exec_lo, s1
; %bb.34:
	v_mul_f64 v[8:9], s[12:13], v[4:5]
                                        ; implicit-def: $vgpr6_vgpr7
                                        ; implicit-def: $vgpr4_vgpr5
; %bb.35:
	s_andn2_saveexec_b32 s1, s0
	s_cbranch_execz .LBB0_37
; %bb.36:
	v_mul_f64 v[0:1], s[12:13], v[6:7]
	s_mov_b32 s2, 0x652b82fe
	s_mov_b32 s3, 0x3ff71547
	;; [unrolled: 1-line block ×4, first 2 shown]
	v_mul_f64 v[8:9], v[0:1], s[2:3]
	s_mov_b32 s2, 0xfefa39ef
	s_mov_b32 s3, 0xbfe62e42
	v_cmp_nlt_f64_e32 vcc_lo, 0x40900000, v[0:1]
	v_cmp_ngt_f64_e64 s0, 0xc090cc00, v[0:1]
	v_rndne_f64_e32 v[8:9], v[8:9]
	v_fma_f64 v[10:11], v[8:9], s[2:3], v[0:1]
	s_mov_b32 s2, 0x3b39803f
	s_mov_b32 s3, 0xbc7abc9e
	v_cvt_i32_f64_e32 v16, v[8:9]
	v_fma_f64 v[10:11], v[8:9], s[2:3], v[10:11]
	s_mov_b32 s2, 0xfca7ab0c
	s_mov_b32 s3, 0x3e928af3
	v_fma_f64 v[12:13], v[10:11], s[4:5], s[2:3]
	s_mov_b32 s2, 0x623fde64
	s_mov_b32 s3, 0x3ec71dee
	;; [unrolled: 3-line block ×9, first 2 shown]
	v_fma_f64 v[12:13], v[10:11], v[12:13], s[2:3]
	v_fma_f64 v[12:13], v[10:11], v[12:13], 1.0
	v_fma_f64 v[8:9], v[10:11], v[12:13], 1.0
	v_ldexp_f64 v[8:9], v[8:9], v16
	v_add_f64 v[8:9], v[8:9], -1.0
	v_cndmask_b32_e32 v9, 0x7ff00000, v9, vcc_lo
	s_and_b32 vcc_lo, s0, vcc_lo
	v_cndmask_b32_e32 v0, 0, v8, vcc_lo
	v_cndmask_b32_e64 v1, 0xbff00000, v9, s0
	v_mul_f64 v[0:1], v[4:5], v[0:1]
	v_div_scale_f64 v[4:5], null, v[6:7], v[6:7], v[0:1]
	v_rcp_f64_e32 v[8:9], v[4:5]
	v_fma_f64 v[10:11], -v[4:5], v[8:9], 1.0
	v_fma_f64 v[8:9], v[8:9], v[10:11], v[8:9]
	v_fma_f64 v[10:11], -v[4:5], v[8:9], 1.0
	v_fma_f64 v[8:9], v[8:9], v[10:11], v[8:9]
	v_div_scale_f64 v[10:11], vcc_lo, v[0:1], v[6:7], v[0:1]
	v_mul_f64 v[12:13], v[10:11], v[8:9]
	v_fma_f64 v[4:5], -v[4:5], v[12:13], v[10:11]
	v_div_fmas_f64 v[4:5], v[4:5], v[8:9], v[12:13]
	v_div_fixup_f64 v[8:9], v[4:5], v[6:7], v[0:1]
.LBB0_37:
	s_or_b32 exec_lo, exec_lo, s1
	v_add_f64 v[0:1], v[116:117], v[8:9]
	s_mov_b32 s0, 0xb6db6db7
	s_mov_b32 s1, 0x4006db6d
	;; [unrolled: 1-line block ×21, first 2 shown]
	global_store_dwordx2 v[84:85], v[0:1], off
	v_add_f64 v[0:1], v[72:73], s[0:1]
	s_mov_b32 s27, 0x3fa55555
	s_mov_b32 s28, 0x55555511
	;; [unrolled: 1-line block ×5, first 2 shown]
	v_mul_f64 v[4:5], v[0:1], s[2:3]
	v_cmp_ngt_f64_e64 s0, 0xc090cc00, v[0:1]
	v_rndne_f64_e32 v[4:5], v[4:5]
	v_fma_f64 v[6:7], v[4:5], s[4:5], v[0:1]
	v_fma_f64 v[6:7], v[4:5], s[6:7], v[6:7]
	v_cvt_i32_f64_e32 v4, v[4:5]
	v_fma_f64 v[8:9], v[6:7], s[14:15], s[8:9]
	v_fma_f64 v[8:9], v[6:7], v[8:9], s[16:17]
	;; [unrolled: 1-line block ×9, first 2 shown]
	v_fma_f64 v[8:9], v[6:7], v[8:9], 1.0
	v_fma_f64 v[6:7], v[6:7], v[8:9], 1.0
	v_ldexp_f64 v[4:5], v[6:7], v4
	v_add_f64 v[4:5], v[4:5], 1.0
	v_div_scale_f64 v[6:7], null, v[4:5], v[4:5], 1.0
	v_rcp_f64_e32 v[8:9], v[6:7]
	v_fma_f64 v[10:11], -v[6:7], v[8:9], 1.0
	v_fma_f64 v[8:9], v[8:9], v[10:11], v[8:9]
	v_fma_f64 v[10:11], -v[6:7], v[8:9], 1.0
	v_fma_f64 v[8:9], v[8:9], v[10:11], v[8:9]
	v_div_scale_f64 v[10:11], vcc_lo, 1.0, v[4:5], 1.0
	v_mul_f64 v[12:13], v[10:11], v[8:9]
	v_fma_f64 v[6:7], -v[6:7], v[12:13], v[10:11]
	v_div_fmas_f64 v[6:7], v[6:7], v[8:9], v[12:13]
	v_cmp_nlt_f64_e32 vcc_lo, 0x40900000, v[0:1]
	v_add_f64 v[0:1], 0x40080000, v[62:63]
	v_div_fixup_f64 v[4:5], v[6:7], v[4:5], 1.0
	v_cndmask_b32_e32 v5, 0, v5, vcc_lo
	s_and_b32 vcc_lo, s0, vcc_lo
	v_cndmask_b32_e32 v6, 0, v4, vcc_lo
	v_cmp_nlt_f64_e32 vcc_lo, 0x40900000, v[0:1]
	v_cndmask_b32_e64 v7, 0x3ff00000, v5, s0
	v_mul_f64 v[4:5], v[0:1], s[2:3]
	v_cmp_ngt_f64_e64 s0, 0xc090cc00, v[0:1]
	v_add_f64 v[6:7], v[6:7], -v[54:55]
	v_rndne_f64_e32 v[4:5], v[4:5]
	v_fma_f64 v[8:9], v[4:5], s[4:5], v[0:1]
	v_fma_f64 v[8:9], v[4:5], s[6:7], v[8:9]
	v_cvt_i32_f64_e32 v4, v[4:5]
	v_fma_f64 v[10:11], v[8:9], s[14:15], s[8:9]
	v_fma_f64 v[10:11], v[8:9], v[10:11], s[16:17]
	;; [unrolled: 1-line block ×9, first 2 shown]
	v_fma_f64 v[10:11], v[8:9], v[10:11], 1.0
	v_fma_f64 v[8:9], v[8:9], v[10:11], 1.0
	v_ldexp_f64 v[4:5], v[8:9], v4
	v_add_f64 v[4:5], v[4:5], 1.0
	v_cndmask_b32_e32 v5, 0x7ff00000, v5, vcc_lo
	s_and_b32 vcc_lo, s0, vcc_lo
	v_cndmask_b32_e32 v0, 0, v4, vcc_lo
	v_cndmask_b32_e64 v1, 0x3ff00000, v5, s0
	s_mov_b32 s0, 0xcccccccd
	s_mov_b32 s1, 0x3ff4cccc
	v_div_scale_f64 v[4:5], null, v[0:1], v[0:1], 0x40668000
	v_rcp_f64_e32 v[8:9], v[4:5]
	v_fma_f64 v[10:11], -v[4:5], v[8:9], 1.0
	v_fma_f64 v[8:9], v[8:9], v[10:11], v[8:9]
	v_fma_f64 v[10:11], -v[4:5], v[8:9], 1.0
	v_fma_f64 v[8:9], v[8:9], v[10:11], v[8:9]
	v_div_scale_f64 v[10:11], vcc_lo, 0x40668000, v[0:1], 0x40668000
	v_mul_f64 v[12:13], v[10:11], v[8:9]
	v_fma_f64 v[4:5], -v[4:5], v[12:13], v[10:11]
	v_div_fmas_f64 v[4:5], v[4:5], v[8:9], v[12:13]
	v_add_f64 v[8:9], -v[62:63], s[0:1]
	v_div_fixup_f64 v[4:5], v[4:5], v[0:1], 0x40668000
	v_mul_f64 v[10:11], v[8:9], s[2:3]
	v_cmp_ngt_f64_e64 s0, 0xc090cc00, v[8:9]
	v_add_f64 v[4:5], 0x40340000, v[4:5]
	v_rndne_f64_e32 v[10:11], v[10:11]
	v_fma_f64 v[12:13], v[10:11], s[4:5], v[8:9]
	v_fma_f64 v[12:13], v[10:11], s[6:7], v[12:13]
	v_cvt_i32_f64_e32 v10, v[10:11]
	v_fma_f64 v[16:17], v[12:13], s[14:15], s[8:9]
	v_fma_f64 v[16:17], v[12:13], v[16:17], s[16:17]
	;; [unrolled: 1-line block ×9, first 2 shown]
	v_fma_f64 v[16:17], v[12:13], v[16:17], 1.0
	v_fma_f64 v[12:13], v[12:13], v[16:17], 1.0
	v_ldexp_f64 v[10:11], v[12:13], v10
	v_add_f64 v[10:11], v[10:11], 1.0
	v_div_scale_f64 v[12:13], null, v[10:11], v[10:11], 0x40690000
	v_rcp_f64_e32 v[16:17], v[12:13]
	v_fma_f64 v[20:21], -v[12:13], v[16:17], 1.0
	v_fma_f64 v[16:17], v[16:17], v[20:21], v[16:17]
	v_fma_f64 v[20:21], -v[12:13], v[16:17], 1.0
	v_fma_f64 v[16:17], v[16:17], v[20:21], v[16:17]
	v_div_scale_f64 v[20:21], vcc_lo, 0x40690000, v[10:11], 0x40690000
	v_mul_f64 v[24:25], v[20:21], v[16:17]
	v_fma_f64 v[12:13], -v[12:13], v[24:25], v[20:21]
	v_div_fmas_f64 v[12:13], v[12:13], v[16:17], v[24:25]
	v_cmp_nlt_f64_e32 vcc_lo, 0x40900000, v[8:9]
	v_div_fixup_f64 v[10:11], v[12:13], v[10:11], 0x40690000
	v_cndmask_b32_e32 v11, 0, v11, vcc_lo
	s_and_b32 vcc_lo, s0, vcc_lo
	v_cndmask_b32_e32 v8, 0, v10, vcc_lo
	v_cndmask_b32_e64 v9, 0x40690000, v11, s0
	v_add_f64 v[8:9], v[8:9], v[4:5]
	v_add_f64 v[4:5], 0x403b0000, v[2:3]
	v_mul_f64 v[4:5], v[4:5], -v[4:5]
	v_div_scale_f64 v[10:11], null, 0x406c2000, 0x406c2000, v[4:5]
	v_rcp_f64_e32 v[12:13], v[10:11]
	v_fma_f64 v[16:17], -v[10:11], v[12:13], 1.0
	v_fma_f64 v[12:13], v[12:13], v[16:17], v[12:13]
	v_fma_f64 v[16:17], -v[10:11], v[12:13], 1.0
	v_fma_f64 v[12:13], v[12:13], v[16:17], v[12:13]
	v_div_scale_f64 v[16:17], vcc_lo, v[4:5], 0x406c2000, v[4:5]
	v_mul_f64 v[20:21], v[16:17], v[12:13]
	v_fma_f64 v[10:11], -v[10:11], v[20:21], v[16:17]
	v_div_fmas_f64 v[10:11], v[10:11], v[12:13], v[20:21]
	v_div_fixup_f64 v[10:11], v[10:11], 0x406c2000, v[4:5]
	v_mul_f64 v[12:13], v[10:11], s[2:3]
	v_cmp_nlt_f64_e32 vcc_lo, 0x40900000, v[10:11]
	v_cmp_ngt_f64_e64 s0, 0xc090cc00, v[10:11]
	v_rndne_f64_e32 v[12:13], v[12:13]
	v_fma_f64 v[16:17], v[12:13], s[4:5], v[10:11]
	v_fma_f64 v[16:17], v[12:13], s[6:7], v[16:17]
	v_cvt_i32_f64_e32 v12, v[12:13]
	v_fma_f64 v[20:21], v[16:17], s[14:15], s[8:9]
	v_fma_f64 v[20:21], v[16:17], v[20:21], s[16:17]
	;; [unrolled: 1-line block ×9, first 2 shown]
	v_fma_f64 v[20:21], v[16:17], v[20:21], 1.0
	v_fma_f64 v[16:17], v[16:17], v[20:21], 1.0
	v_ldexp_f64 v[12:13], v[16:17], v12
	v_mul_f64 v[12:13], 0x40913a00, v[12:13]
	v_cndmask_b32_e32 v13, 0x7ff00000, v13, vcc_lo
	s_and_b32 vcc_lo, s0, vcc_lo
	v_cndmask_b32_e32 v10, 0, v12, vcc_lo
	v_cndmask_b32_e64 v11, 0, v13, s0
	s_mov_b32 s0, 0xe2308c3a
	s_mov_b32 s1, 0x3e45798e
	v_add_f64 v[8:9], v[10:11], v[8:9]
	v_div_scale_f64 v[10:11], null, v[8:9], v[8:9], v[6:7]
	v_rcp_f64_e32 v[12:13], v[10:11]
	v_fma_f64 v[16:17], -v[10:11], v[12:13], 1.0
	v_fma_f64 v[12:13], v[12:13], v[16:17], v[12:13]
	v_fma_f64 v[16:17], -v[10:11], v[12:13], 1.0
	v_fma_f64 v[12:13], v[12:13], v[16:17], v[12:13]
	v_div_scale_f64 v[16:17], vcc_lo, v[6:7], v[8:9], v[6:7]
	v_mul_f64 v[20:21], v[16:17], v[12:13]
	v_fma_f64 v[10:11], -v[10:11], v[20:21], v[16:17]
	v_div_fmas_f64 v[10:11], v[10:11], v[12:13], v[20:21]
	v_div_fixup_f64 v[6:7], v[10:11], v[8:9], v[6:7]
	v_div_scale_f64 v[10:11], null, v[8:9], v[8:9], -1.0
	v_rcp_f64_e32 v[12:13], v[10:11]
	v_fma_f64 v[16:17], -v[10:11], v[12:13], 1.0
	v_fma_f64 v[12:13], v[12:13], v[16:17], v[12:13]
	v_fma_f64 v[16:17], -v[10:11], v[12:13], 1.0
	v_fma_f64 v[12:13], v[12:13], v[16:17], v[12:13]
	v_div_scale_f64 v[16:17], vcc_lo, -1.0, v[8:9], -1.0
	v_mul_f64 v[20:21], v[16:17], v[12:13]
	v_fma_f64 v[10:11], -v[10:11], v[20:21], v[16:17]
	v_div_fmas_f64 v[10:11], v[10:11], v[12:13], v[20:21]
	v_div_fixup_f64 v[8:9], v[10:11], v[8:9], -1.0
                                        ; implicit-def: $vgpr10_vgpr11
	v_cmp_ngt_f64_e64 s0, |v[8:9]|, s[0:1]
	s_and_saveexec_b32 s1, s0
	s_xor_b32 s0, exec_lo, s1
; %bb.38:
	v_mul_f64 v[10:11], s[12:13], v[6:7]
                                        ; implicit-def: $vgpr8_vgpr9
                                        ; implicit-def: $vgpr6_vgpr7
; %bb.39:
	s_andn2_saveexec_b32 s1, s0
	s_cbranch_execz .LBB0_41
; %bb.40:
	v_mul_f64 v[10:11], s[12:13], v[8:9]
	s_mov_b32 s4, 0x6a5dcb37
	s_mov_b32 s5, 0x3e5ade15
	v_mul_f64 v[12:13], v[10:11], s[2:3]
	s_mov_b32 s2, 0xfefa39ef
	s_mov_b32 s3, 0xbfe62e42
	v_cmp_nlt_f64_e32 vcc_lo, 0x40900000, v[10:11]
	v_cmp_ngt_f64_e64 s0, 0xc090cc00, v[10:11]
	v_rndne_f64_e32 v[12:13], v[12:13]
	v_fma_f64 v[16:17], v[12:13], s[2:3], v[10:11]
	s_mov_b32 s2, 0x3b39803f
	s_mov_b32 s3, 0xbc7abc9e
	v_cvt_i32_f64_e32 v24, v[12:13]
	v_fma_f64 v[16:17], v[12:13], s[2:3], v[16:17]
	s_mov_b32 s2, 0xfca7ab0c
	s_mov_b32 s3, 0x3e928af3
	v_fma_f64 v[20:21], v[16:17], s[4:5], s[2:3]
	s_mov_b32 s2, 0x623fde64
	s_mov_b32 s3, 0x3ec71dee
	;; [unrolled: 3-line block ×9, first 2 shown]
	v_fma_f64 v[20:21], v[16:17], v[20:21], s[2:3]
	v_fma_f64 v[20:21], v[16:17], v[20:21], 1.0
	v_fma_f64 v[12:13], v[16:17], v[20:21], 1.0
	v_ldexp_f64 v[12:13], v[12:13], v24
	v_add_f64 v[12:13], v[12:13], -1.0
	v_cndmask_b32_e32 v13, 0x7ff00000, v13, vcc_lo
	s_and_b32 vcc_lo, s0, vcc_lo
	v_cndmask_b32_e32 v10, 0, v12, vcc_lo
	v_cndmask_b32_e64 v11, 0xbff00000, v13, s0
	v_mul_f64 v[6:7], v[6:7], v[10:11]
	v_div_scale_f64 v[10:11], null, v[8:9], v[8:9], v[6:7]
	v_rcp_f64_e32 v[12:13], v[10:11]
	v_fma_f64 v[16:17], -v[10:11], v[12:13], 1.0
	v_fma_f64 v[12:13], v[12:13], v[16:17], v[12:13]
	v_fma_f64 v[16:17], -v[10:11], v[12:13], 1.0
	v_fma_f64 v[12:13], v[12:13], v[16:17], v[12:13]
	v_div_scale_f64 v[16:17], vcc_lo, v[6:7], v[8:9], v[6:7]
	v_mul_f64 v[20:21], v[16:17], v[12:13]
	v_fma_f64 v[10:11], -v[10:11], v[20:21], v[16:17]
	v_div_fmas_f64 v[10:11], v[10:11], v[12:13], v[20:21]
	v_div_fixup_f64 v[10:11], v[10:11], v[8:9], v[6:7]
.LBB0_41:
	s_or_b32 exec_lo, exec_lo, s1
	v_add_f64 v[6:7], v[54:55], v[10:11]
	s_mov_b32 s2, 0x652b82fe
	s_mov_b32 s3, 0x3ff71547
	s_mov_b32 s4, 0xfefa39ef
	s_mov_b32 s5, 0xbfe62e42
	s_mov_b32 s0, 0xd70a3d71
	s_mov_b32 s1, 0x3fe570a3
	global_store_dwordx2 v[80:81], v[6:7], off
	v_add_f64 v[6:7], 0x40140000, v[72:73]
	v_mul_f64 v[8:9], v[6:7], s[2:3]
	v_rndne_f64_e32 v[8:9], v[8:9]
	v_fma_f64 v[10:11], v[8:9], s[4:5], v[6:7]
	v_fma_f64 v[10:11], v[8:9], s[6:7], v[10:11]
	v_cvt_i32_f64_e32 v8, v[8:9]
	v_fma_f64 v[12:13], v[10:11], s[14:15], s[8:9]
	v_fma_f64 v[12:13], v[10:11], v[12:13], s[16:17]
	;; [unrolled: 1-line block ×9, first 2 shown]
	v_fma_f64 v[12:13], v[10:11], v[12:13], 1.0
	v_fma_f64 v[10:11], v[10:11], v[12:13], 1.0
	v_ldexp_f64 v[8:9], v[10:11], v8
	v_add_f64 v[8:9], v[8:9], 1.0
	v_div_scale_f64 v[10:11], null, v[8:9], v[8:9], s[0:1]
	v_rcp_f64_e32 v[12:13], v[10:11]
	v_fma_f64 v[16:17], -v[10:11], v[12:13], 1.0
	v_fma_f64 v[12:13], v[12:13], v[16:17], v[12:13]
	v_fma_f64 v[16:17], -v[10:11], v[12:13], 1.0
	v_fma_f64 v[12:13], v[12:13], v[16:17], v[12:13]
	v_div_scale_f64 v[16:17], vcc_lo, s[0:1], v[8:9], s[0:1]
	v_mul_f64 v[20:21], v[16:17], v[12:13]
	v_fma_f64 v[10:11], -v[10:11], v[20:21], v[16:17]
	v_div_fmas_f64 v[10:11], v[10:11], v[12:13], v[20:21]
	v_cmp_nlt_f64_e32 vcc_lo, 0x40900000, v[6:7]
	v_div_fixup_f64 v[8:9], v[10:11], v[8:9], s[0:1]
	s_mov_b32 s0, 0x51eb851f
	s_mov_b32 s1, 0x3fd51eb8
	v_add_f64 v[8:9], v[8:9], s[0:1]
	v_cndmask_b32_e32 v8, 0x51eb851f, v8, vcc_lo
	v_cndmask_b32_e32 v9, 0x3fd51eb8, v9, vcc_lo
	v_cmp_ngt_f64_e32 vcc_lo, 0xc090cc00, v[6:7]
	v_cndmask_b32_e32 v7, 0x3ff00000, v9, vcc_lo
	v_cndmask_b32_e32 v6, 0, v8, vcc_lo
	v_add_f64 v[8:9], 0x40040000, -v[62:63]
	v_mul_f64 v[10:11], v[8:9], s[2:3]
	v_cmp_ngt_f64_e64 s0, 0xc090cc00, v[8:9]
	v_rndne_f64_e32 v[10:11], v[10:11]
	v_fma_f64 v[12:13], v[10:11], s[4:5], v[8:9]
	v_fma_f64 v[12:13], v[10:11], s[6:7], v[12:13]
	v_cvt_i32_f64_e32 v10, v[10:11]
	v_fma_f64 v[16:17], v[12:13], s[14:15], s[8:9]
	v_fma_f64 v[16:17], v[12:13], v[16:17], s[16:17]
	;; [unrolled: 1-line block ×9, first 2 shown]
	v_fma_f64 v[16:17], v[12:13], v[16:17], 1.0
	v_fma_f64 v[12:13], v[12:13], v[16:17], 1.0
	v_ldexp_f64 v[10:11], v[12:13], v10
	v_add_f64 v[10:11], v[10:11], 1.0
	v_div_scale_f64 v[12:13], null, v[10:11], v[10:11], 0x403f0000
	v_rcp_f64_e32 v[16:17], v[12:13]
	v_fma_f64 v[20:21], -v[12:13], v[16:17], 1.0
	v_fma_f64 v[16:17], v[16:17], v[20:21], v[16:17]
	v_fma_f64 v[20:21], -v[12:13], v[16:17], 1.0
	v_fma_f64 v[16:17], v[16:17], v[20:21], v[16:17]
	v_div_scale_f64 v[20:21], vcc_lo, 0x403f0000, v[10:11], 0x403f0000
	v_mul_f64 v[24:25], v[20:21], v[16:17]
	v_fma_f64 v[12:13], -v[12:13], v[24:25], v[20:21]
	v_div_fmas_f64 v[12:13], v[12:13], v[16:17], v[24:25]
	v_cmp_nlt_f64_e32 vcc_lo, 0x40900000, v[8:9]
	v_div_fixup_f64 v[10:11], v[12:13], v[10:11], 0x403f0000
	v_cndmask_b32_e32 v11, 0, v11, vcc_lo
	s_and_b32 vcc_lo, s0, vcc_lo
	v_cndmask_b32_e32 v8, 0, v10, vcc_lo
	v_cndmask_b32_e64 v9, 0x403f0000, v11, s0
	v_div_scale_f64 v[10:11], null, v[0:1], v[0:1], 0x40540000
	v_rcp_f64_e32 v[12:13], v[10:11]
	v_fma_f64 v[16:17], -v[10:11], v[12:13], 1.0
	v_fma_f64 v[12:13], v[12:13], v[16:17], v[12:13]
	v_fma_f64 v[16:17], -v[10:11], v[12:13], 1.0
	v_fma_f64 v[12:13], v[12:13], v[16:17], v[12:13]
	v_div_scale_f64 v[16:17], vcc_lo, 0x40540000, v[0:1], 0x40540000
	v_mul_f64 v[20:21], v[16:17], v[12:13]
	v_fma_f64 v[10:11], -v[10:11], v[20:21], v[16:17]
	v_div_fmas_f64 v[10:11], v[10:11], v[12:13], v[20:21]
	v_div_fixup_f64 v[0:1], v[10:11], v[0:1], 0x40540000
	v_add_f64 v[0:1], v[8:9], v[0:1]
	v_div_scale_f64 v[8:9], null, 0x406e0000, 0x406e0000, v[4:5]
	v_rcp_f64_e32 v[10:11], v[8:9]
	v_fma_f64 v[12:13], -v[8:9], v[10:11], 1.0
	v_fma_f64 v[10:11], v[10:11], v[12:13], v[10:11]
	v_fma_f64 v[12:13], -v[8:9], v[10:11], 1.0
	v_fma_f64 v[10:11], v[10:11], v[12:13], v[10:11]
	v_div_scale_f64 v[12:13], vcc_lo, v[4:5], 0x406e0000, v[4:5]
	v_mul_f64 v[16:17], v[12:13], v[10:11]
	v_fma_f64 v[8:9], -v[8:9], v[16:17], v[12:13]
	v_div_fmas_f64 v[8:9], v[8:9], v[10:11], v[16:17]
	v_div_fixup_f64 v[4:5], v[8:9], 0x406e0000, v[4:5]
	v_mul_f64 v[8:9], v[4:5], s[2:3]
	v_cmp_nlt_f64_e32 vcc_lo, 0x40900000, v[4:5]
	v_cmp_ngt_f64_e64 s0, 0xc090cc00, v[4:5]
	v_rndne_f64_e32 v[8:9], v[8:9]
	v_fma_f64 v[10:11], v[8:9], s[4:5], v[4:5]
	v_fma_f64 v[10:11], v[8:9], s[6:7], v[10:11]
	v_cvt_i32_f64_e32 v8, v[8:9]
	v_fma_f64 v[12:13], v[10:11], s[14:15], s[8:9]
	v_fma_f64 v[12:13], v[10:11], v[12:13], s[16:17]
	;; [unrolled: 1-line block ×9, first 2 shown]
	v_fma_f64 v[12:13], v[10:11], v[12:13], 1.0
	v_fma_f64 v[10:11], v[10:11], v[12:13], 1.0
	v_ldexp_f64 v[8:9], v[10:11], v8
	v_mul_f64 v[8:9], 0x40819000, v[8:9]
	v_cndmask_b32_e32 v9, 0x7ff00000, v9, vcc_lo
	s_and_b32 vcc_lo, s0, vcc_lo
	v_cndmask_b32_e32 v4, 0, v8, vcc_lo
	v_cndmask_b32_e64 v5, 0, v9, s0
	s_mov_b32 s0, 0xe2308c3a
	s_mov_b32 s1, 0x3e45798e
	v_add_f64 v[4:5], v[4:5], v[0:1]
	v_add_f64 v[0:1], v[6:7], -v[56:57]
	v_div_scale_f64 v[6:7], null, v[4:5], v[4:5], v[0:1]
	v_rcp_f64_e32 v[8:9], v[6:7]
	v_fma_f64 v[10:11], -v[6:7], v[8:9], 1.0
	v_fma_f64 v[8:9], v[8:9], v[10:11], v[8:9]
	v_fma_f64 v[10:11], -v[6:7], v[8:9], 1.0
	v_fma_f64 v[8:9], v[8:9], v[10:11], v[8:9]
	v_div_scale_f64 v[10:11], vcc_lo, v[0:1], v[4:5], v[0:1]
	v_mul_f64 v[12:13], v[10:11], v[8:9]
	v_fma_f64 v[6:7], -v[6:7], v[12:13], v[10:11]
	v_div_fmas_f64 v[6:7], v[6:7], v[8:9], v[12:13]
	v_div_fixup_f64 v[0:1], v[6:7], v[4:5], v[0:1]
	v_div_scale_f64 v[6:7], null, v[4:5], v[4:5], -1.0
	v_rcp_f64_e32 v[8:9], v[6:7]
	v_fma_f64 v[10:11], -v[6:7], v[8:9], 1.0
	v_fma_f64 v[8:9], v[8:9], v[10:11], v[8:9]
	v_fma_f64 v[10:11], -v[6:7], v[8:9], 1.0
	v_fma_f64 v[8:9], v[8:9], v[10:11], v[8:9]
	v_div_scale_f64 v[10:11], vcc_lo, -1.0, v[4:5], -1.0
	v_mul_f64 v[12:13], v[10:11], v[8:9]
	v_fma_f64 v[6:7], -v[6:7], v[12:13], v[10:11]
	v_div_fmas_f64 v[6:7], v[6:7], v[8:9], v[12:13]
	v_div_fixup_f64 v[4:5], v[6:7], v[4:5], -1.0
                                        ; implicit-def: $vgpr6_vgpr7
	v_cmp_ngt_f64_e64 s0, |v[4:5]|, s[0:1]
	s_and_saveexec_b32 s1, s0
	s_xor_b32 s0, exec_lo, s1
; %bb.42:
	v_mul_f64 v[6:7], s[12:13], v[0:1]
                                        ; implicit-def: $vgpr4_vgpr5
                                        ; implicit-def: $vgpr0_vgpr1
; %bb.43:
	s_andn2_saveexec_b32 s1, s0
	s_cbranch_execz .LBB0_45
; %bb.44:
	v_mul_f64 v[6:7], s[12:13], v[4:5]
	s_mov_b32 s4, 0x6a5dcb37
	s_mov_b32 s5, 0x3e5ade15
	v_mul_f64 v[8:9], v[6:7], s[2:3]
	s_mov_b32 s2, 0xfefa39ef
	s_mov_b32 s3, 0xbfe62e42
	v_cmp_nlt_f64_e32 vcc_lo, 0x40900000, v[6:7]
	v_cmp_ngt_f64_e64 s0, 0xc090cc00, v[6:7]
	v_rndne_f64_e32 v[8:9], v[8:9]
	v_fma_f64 v[10:11], v[8:9], s[2:3], v[6:7]
	s_mov_b32 s2, 0x3b39803f
	s_mov_b32 s3, 0xbc7abc9e
	v_cvt_i32_f64_e32 v16, v[8:9]
	v_fma_f64 v[10:11], v[8:9], s[2:3], v[10:11]
	s_mov_b32 s2, 0xfca7ab0c
	s_mov_b32 s3, 0x3e928af3
	v_fma_f64 v[12:13], v[10:11], s[4:5], s[2:3]
	s_mov_b32 s2, 0x623fde64
	s_mov_b32 s3, 0x3ec71dee
	;; [unrolled: 3-line block ×9, first 2 shown]
	v_fma_f64 v[12:13], v[10:11], v[12:13], s[2:3]
	v_fma_f64 v[12:13], v[10:11], v[12:13], 1.0
	v_fma_f64 v[8:9], v[10:11], v[12:13], 1.0
	v_ldexp_f64 v[8:9], v[8:9], v16
	v_add_f64 v[8:9], v[8:9], -1.0
	v_cndmask_b32_e32 v9, 0x7ff00000, v9, vcc_lo
	s_and_b32 vcc_lo, s0, vcc_lo
	v_cndmask_b32_e32 v6, 0, v8, vcc_lo
	v_cndmask_b32_e64 v7, 0xbff00000, v9, s0
	v_mul_f64 v[0:1], v[0:1], v[6:7]
	v_div_scale_f64 v[6:7], null, v[4:5], v[4:5], v[0:1]
	v_rcp_f64_e32 v[8:9], v[6:7]
	v_fma_f64 v[10:11], -v[6:7], v[8:9], 1.0
	v_fma_f64 v[8:9], v[8:9], v[10:11], v[8:9]
	v_fma_f64 v[10:11], -v[6:7], v[8:9], 1.0
	v_fma_f64 v[8:9], v[8:9], v[10:11], v[8:9]
	v_div_scale_f64 v[10:11], vcc_lo, v[0:1], v[4:5], v[0:1]
	v_mul_f64 v[12:13], v[10:11], v[8:9]
	v_fma_f64 v[6:7], -v[6:7], v[12:13], v[10:11]
	v_div_fmas_f64 v[6:7], v[6:7], v[8:9], v[12:13]
	v_div_fixup_f64 v[6:7], v[6:7], v[4:5], v[0:1]
.LBB0_45:
	s_or_b32 exec_lo, exec_lo, s1
	v_add_f64 v[0:1], v[56:57], v[6:7]
	v_mul_f64 v[124:125], v[58:59], v[58:59]
	s_mov_b32 s0, 0x33333333
	s_mov_b32 s1, 0x3fe33333
	global_store_dwordx2 v[68:69], v[0:1], off
	v_fma_f64 v[0:1], 0x40790000, v[124:125], 1.0
	v_div_scale_f64 v[4:5], null, v[0:1], v[0:1], s[0:1]
	v_rcp_f64_e32 v[6:7], v[4:5]
	v_fma_f64 v[8:9], -v[4:5], v[6:7], 1.0
	v_fma_f64 v[6:7], v[6:7], v[8:9], v[6:7]
	v_fma_f64 v[8:9], -v[4:5], v[6:7], 1.0
	v_fma_f64 v[6:7], v[6:7], v[8:9], v[6:7]
	v_div_scale_f64 v[8:9], vcc_lo, s[0:1], v[0:1], s[0:1]
	v_mul_f64 v[10:11], v[8:9], v[6:7]
	v_fma_f64 v[4:5], -v[4:5], v[10:11], v[8:9]
	v_div_fmas_f64 v[4:5], v[4:5], v[6:7], v[10:11]
	v_div_scale_f64 v[6:7], null, v[0:1], v[0:1], 0x40540000
	v_div_fixup_f64 v[4:5], v[4:5], v[0:1], s[0:1]
	v_rcp_f64_e32 v[8:9], v[6:7]
	s_mov_b32 s0, 0x9999999a
	s_mov_b32 s1, 0x3fd99999
	v_add_f64 v[4:5], v[4:5], s[0:1]
	s_mov_b32 s0, 0xe2308c3a
	s_mov_b32 s1, 0x3e45798e
	v_fma_f64 v[10:11], -v[6:7], v[8:9], 1.0
	v_fma_f64 v[8:9], v[8:9], v[10:11], v[8:9]
	v_fma_f64 v[10:11], -v[6:7], v[8:9], 1.0
	v_fma_f64 v[8:9], v[8:9], v[10:11], v[8:9]
	v_div_scale_f64 v[10:11], vcc_lo, 0x40540000, v[0:1], 0x40540000
	v_mul_f64 v[12:13], v[10:11], v[8:9]
	v_fma_f64 v[6:7], -v[6:7], v[12:13], v[10:11]
	v_div_fmas_f64 v[6:7], v[6:7], v[8:9], v[12:13]
	v_div_fixup_f64 v[0:1], v[6:7], v[0:1], 0x40540000
	v_add_f64 v[6:7], v[0:1], 2.0
	v_add_f64 v[0:1], v[4:5], -v[110:111]
	v_div_scale_f64 v[4:5], null, v[6:7], v[6:7], v[0:1]
	v_rcp_f64_e32 v[8:9], v[4:5]
	v_fma_f64 v[10:11], -v[4:5], v[8:9], 1.0
	v_fma_f64 v[8:9], v[8:9], v[10:11], v[8:9]
	v_fma_f64 v[10:11], -v[4:5], v[8:9], 1.0
	v_fma_f64 v[8:9], v[8:9], v[10:11], v[8:9]
	v_div_scale_f64 v[10:11], vcc_lo, v[0:1], v[6:7], v[0:1]
	v_mul_f64 v[12:13], v[10:11], v[8:9]
	v_fma_f64 v[4:5], -v[4:5], v[12:13], v[10:11]
	v_div_fmas_f64 v[4:5], v[4:5], v[8:9], v[12:13]
	v_div_fixup_f64 v[0:1], v[4:5], v[6:7], v[0:1]
	v_div_scale_f64 v[4:5], null, v[6:7], v[6:7], -1.0
	v_rcp_f64_e32 v[8:9], v[4:5]
	v_fma_f64 v[10:11], -v[4:5], v[8:9], 1.0
	v_fma_f64 v[8:9], v[8:9], v[10:11], v[8:9]
	v_fma_f64 v[10:11], -v[4:5], v[8:9], 1.0
	v_fma_f64 v[8:9], v[8:9], v[10:11], v[8:9]
	v_div_scale_f64 v[10:11], vcc_lo, -1.0, v[6:7], -1.0
	v_mul_f64 v[12:13], v[10:11], v[8:9]
	v_fma_f64 v[4:5], -v[4:5], v[12:13], v[10:11]
	v_div_fmas_f64 v[4:5], v[4:5], v[8:9], v[12:13]
	v_div_fixup_f64 v[4:5], v[4:5], v[6:7], -1.0
                                        ; implicit-def: $vgpr6_vgpr7
	v_cmp_ngt_f64_e64 s0, |v[4:5]|, s[0:1]
	s_and_saveexec_b32 s1, s0
	s_xor_b32 s0, exec_lo, s1
; %bb.46:
	v_mul_f64 v[6:7], s[12:13], v[0:1]
                                        ; implicit-def: $vgpr4_vgpr5
                                        ; implicit-def: $vgpr0_vgpr1
; %bb.47:
	s_andn2_saveexec_b32 s1, s0
	s_cbranch_execz .LBB0_49
; %bb.48:
	v_mul_f64 v[6:7], s[12:13], v[4:5]
	s_mov_b32 s2, 0x652b82fe
	s_mov_b32 s3, 0x3ff71547
	;; [unrolled: 1-line block ×4, first 2 shown]
	v_mul_f64 v[8:9], v[6:7], s[2:3]
	s_mov_b32 s2, 0xfefa39ef
	s_mov_b32 s3, 0xbfe62e42
	v_cmp_nlt_f64_e32 vcc_lo, 0x40900000, v[6:7]
	v_cmp_ngt_f64_e64 s0, 0xc090cc00, v[6:7]
	v_rndne_f64_e32 v[8:9], v[8:9]
	v_fma_f64 v[10:11], v[8:9], s[2:3], v[6:7]
	s_mov_b32 s2, 0x3b39803f
	s_mov_b32 s3, 0xbc7abc9e
	v_cvt_i32_f64_e32 v16, v[8:9]
	v_fma_f64 v[10:11], v[8:9], s[2:3], v[10:11]
	s_mov_b32 s2, 0xfca7ab0c
	s_mov_b32 s3, 0x3e928af3
	v_fma_f64 v[12:13], v[10:11], s[4:5], s[2:3]
	s_mov_b32 s2, 0x623fde64
	s_mov_b32 s3, 0x3ec71dee
	v_fma_f64 v[12:13], v[10:11], v[12:13], s[2:3]
	s_mov_b32 s2, 0x7c89e6b0
	s_mov_b32 s3, 0x3efa0199
	v_fma_f64 v[12:13], v[10:11], v[12:13], s[2:3]
	s_mov_b32 s2, 0x14761f6e
	s_mov_b32 s3, 0x3f2a01a0
	v_fma_f64 v[12:13], v[10:11], v[12:13], s[2:3]
	s_mov_b32 s2, 0x1852b7b0
	s_mov_b32 s3, 0x3f56c16c
	v_fma_f64 v[12:13], v[10:11], v[12:13], s[2:3]
	s_mov_b32 s2, 0x11122322
	s_mov_b32 s3, 0x3f811111
	v_fma_f64 v[12:13], v[10:11], v[12:13], s[2:3]
	s_mov_b32 s2, 0x555502a1
	s_mov_b32 s3, 0x3fa55555
	v_fma_f64 v[12:13], v[10:11], v[12:13], s[2:3]
	s_mov_b32 s2, 0x55555511
	s_mov_b32 s3, 0x3fc55555
	v_fma_f64 v[12:13], v[10:11], v[12:13], s[2:3]
	s_mov_b32 s2, 11
	s_mov_b32 s3, 0x3fe00000
	v_fma_f64 v[12:13], v[10:11], v[12:13], s[2:3]
	v_fma_f64 v[12:13], v[10:11], v[12:13], 1.0
	v_fma_f64 v[8:9], v[10:11], v[12:13], 1.0
	v_ldexp_f64 v[8:9], v[8:9], v16
	v_add_f64 v[8:9], v[8:9], -1.0
	v_cndmask_b32_e32 v9, 0x7ff00000, v9, vcc_lo
	s_and_b32 vcc_lo, s0, vcc_lo
	v_cndmask_b32_e32 v6, 0, v8, vcc_lo
	v_cndmask_b32_e64 v7, 0xbff00000, v9, s0
	v_mul_f64 v[0:1], v[0:1], v[6:7]
	v_div_scale_f64 v[6:7], null, v[4:5], v[4:5], v[0:1]
	v_rcp_f64_e32 v[8:9], v[6:7]
	v_fma_f64 v[10:11], -v[6:7], v[8:9], 1.0
	v_fma_f64 v[8:9], v[8:9], v[10:11], v[8:9]
	v_fma_f64 v[10:11], -v[6:7], v[8:9], 1.0
	v_fma_f64 v[8:9], v[8:9], v[10:11], v[8:9]
	v_div_scale_f64 v[10:11], vcc_lo, v[0:1], v[4:5], v[0:1]
	v_mul_f64 v[12:13], v[10:11], v[8:9]
	v_fma_f64 v[6:7], -v[6:7], v[12:13], v[10:11]
	v_div_fmas_f64 v[6:7], v[6:7], v[8:9], v[12:13]
	v_div_fixup_f64 v[6:7], v[6:7], v[4:5], v[0:1]
.LBB0_49:
	s_or_b32 exec_lo, exec_lo, s1
	v_add_f64 v[0:1], v[110:111], v[6:7]
	s_mov_b32 s2, 0x652b82fe
	s_mov_b32 s3, 0x3ff71547
	;; [unrolled: 1-line block ×4, first 2 shown]
	global_store_dwordx2 v[46:47], v[0:1], off
	v_add_f64 v[0:1], v[38:39], 4.0
	v_mul_f64 v[4:5], v[0:1], s[2:3]
	v_cmp_ngt_f64_e64 s0, 0xc090cc00, v[0:1]
	v_rndne_f64_e32 v[4:5], v[4:5]
	v_fma_f64 v[6:7], v[4:5], s[4:5], v[0:1]
	v_fma_f64 v[6:7], v[4:5], s[6:7], v[6:7]
	v_cvt_i32_f64_e32 v4, v[4:5]
	v_fma_f64 v[8:9], v[6:7], s[14:15], s[8:9]
	v_fma_f64 v[8:9], v[6:7], v[8:9], s[16:17]
	;; [unrolled: 1-line block ×9, first 2 shown]
	v_fma_f64 v[8:9], v[6:7], v[8:9], 1.0
	v_fma_f64 v[6:7], v[6:7], v[8:9], 1.0
	v_ldexp_f64 v[4:5], v[6:7], v4
	v_add_f64 v[4:5], v[4:5], 1.0
	v_div_scale_f64 v[6:7], null, v[4:5], v[4:5], 1.0
	v_rcp_f64_e32 v[8:9], v[6:7]
	v_fma_f64 v[10:11], -v[6:7], v[8:9], 1.0
	v_fma_f64 v[8:9], v[8:9], v[10:11], v[8:9]
	v_fma_f64 v[10:11], -v[6:7], v[8:9], 1.0
	v_fma_f64 v[8:9], v[8:9], v[10:11], v[8:9]
	v_div_scale_f64 v[10:11], vcc_lo, 1.0, v[4:5], 1.0
	v_mul_f64 v[12:13], v[10:11], v[8:9]
	v_fma_f64 v[6:7], -v[6:7], v[12:13], v[10:11]
	v_div_fmas_f64 v[6:7], v[6:7], v[8:9], v[12:13]
	v_cmp_nlt_f64_e32 vcc_lo, 0x40900000, v[0:1]
	v_div_fixup_f64 v[4:5], v[6:7], v[4:5], 1.0
	v_cndmask_b32_e32 v5, 0, v5, vcc_lo
	s_and_b32 vcc_lo, s0, vcc_lo
	v_cndmask_b32_e32 v0, 0, v4, vcc_lo
	v_cndmask_b32_e64 v1, 0x3ff00000, v5, s0
	v_add_f64 v[4:5], v[38:39], -4.0
	v_add_f64 v[0:1], v[0:1], -v[52:53]
	v_mul_f64 v[6:7], v[4:5], s[2:3]
	v_cmp_ngt_f64_e64 s0, 0xc090cc00, v[4:5]
	v_rndne_f64_e32 v[6:7], v[6:7]
	v_fma_f64 v[8:9], v[6:7], s[4:5], v[4:5]
	v_fma_f64 v[8:9], v[6:7], s[6:7], v[8:9]
	v_cvt_i32_f64_e32 v6, v[6:7]
	v_fma_f64 v[10:11], v[8:9], s[14:15], s[8:9]
	v_fma_f64 v[10:11], v[8:9], v[10:11], s[16:17]
	;; [unrolled: 1-line block ×9, first 2 shown]
	v_fma_f64 v[10:11], v[8:9], v[10:11], 1.0
	v_fma_f64 v[8:9], v[8:9], v[10:11], 1.0
	v_ldexp_f64 v[6:7], v[8:9], v6
	v_add_f64 v[6:7], v[6:7], 1.0
	v_div_scale_f64 v[8:9], null, v[6:7], v[6:7], 0x40140000
	v_rcp_f64_e32 v[10:11], v[8:9]
	v_fma_f64 v[12:13], -v[8:9], v[10:11], 1.0
	v_fma_f64 v[10:11], v[10:11], v[12:13], v[10:11]
	v_fma_f64 v[12:13], -v[8:9], v[10:11], 1.0
	v_fma_f64 v[10:11], v[10:11], v[12:13], v[10:11]
	v_div_scale_f64 v[12:13], vcc_lo, 0x40140000, v[6:7], 0x40140000
	v_mul_f64 v[16:17], v[12:13], v[10:11]
	v_fma_f64 v[8:9], -v[8:9], v[16:17], v[12:13]
	v_div_fmas_f64 v[8:9], v[8:9], v[10:11], v[16:17]
	v_cmp_nlt_f64_e32 vcc_lo, 0x40900000, v[4:5]
	v_div_fixup_f64 v[6:7], v[8:9], v[6:7], 0x40140000
	v_add_f64 v[6:7], 0x40080000, v[6:7]
	v_cndmask_b32_e32 v7, 0x40080000, v7, vcc_lo
	s_and_b32 vcc_lo, s0, vcc_lo
	v_cndmask_b32_e32 v4, 0, v6, vcc_lo
	v_cndmask_b32_e64 v5, 0x40200000, v7, s0
	v_add_f64 v[6:7], 0x40468000, v[2:3]
	v_mul_f64 v[6:7], v[6:7], v[6:7]
	v_div_scale_f64 v[8:9], null, 0xc0740000, 0xc0740000, v[6:7]
	v_rcp_f64_e32 v[10:11], v[8:9]
	v_fma_f64 v[12:13], -v[8:9], v[10:11], 1.0
	v_fma_f64 v[10:11], v[10:11], v[12:13], v[10:11]
	v_fma_f64 v[12:13], -v[8:9], v[10:11], 1.0
	v_fma_f64 v[10:11], v[10:11], v[12:13], v[10:11]
	v_div_scale_f64 v[12:13], vcc_lo, v[6:7], 0xc0740000, v[6:7]
	v_mul_f64 v[16:17], v[12:13], v[10:11]
	v_fma_f64 v[8:9], -v[8:9], v[16:17], v[12:13]
	v_div_fmas_f64 v[8:9], v[8:9], v[10:11], v[16:17]
	v_div_fixup_f64 v[6:7], v[8:9], 0xc0740000, v[6:7]
	v_mul_f64 v[8:9], v[6:7], s[2:3]
	v_cmp_nlt_f64_e32 vcc_lo, 0x40900000, v[6:7]
	v_cmp_ngt_f64_e64 s0, 0xc090cc00, v[6:7]
	v_rndne_f64_e32 v[8:9], v[8:9]
	v_fma_f64 v[10:11], v[8:9], s[4:5], v[6:7]
	v_fma_f64 v[10:11], v[8:9], s[6:7], v[10:11]
	v_cvt_i32_f64_e32 v8, v[8:9]
	v_fma_f64 v[12:13], v[10:11], s[14:15], s[8:9]
	v_fma_f64 v[12:13], v[10:11], v[12:13], s[16:17]
	;; [unrolled: 1-line block ×9, first 2 shown]
	v_fma_f64 v[12:13], v[10:11], v[12:13], 1.0
	v_fma_f64 v[10:11], v[10:11], v[12:13], 1.0
	v_ldexp_f64 v[8:9], v[10:11], v8
	v_mul_f64 v[8:9], 0x40554000, v[8:9]
	v_cndmask_b32_e32 v9, 0x7ff00000, v9, vcc_lo
	s_and_b32 vcc_lo, s0, vcc_lo
	v_cndmask_b32_e32 v6, 0, v8, vcc_lo
	v_cndmask_b32_e64 v7, 0, v9, s0
	s_mov_b32 s0, 0xe2308c3a
	s_mov_b32 s1, 0x3e45798e
	v_add_f64 v[4:5], v[6:7], v[4:5]
	v_div_scale_f64 v[6:7], null, v[4:5], v[4:5], v[0:1]
	v_rcp_f64_e32 v[8:9], v[6:7]
	v_fma_f64 v[10:11], -v[6:7], v[8:9], 1.0
	v_fma_f64 v[8:9], v[8:9], v[10:11], v[8:9]
	v_fma_f64 v[10:11], -v[6:7], v[8:9], 1.0
	v_fma_f64 v[8:9], v[8:9], v[10:11], v[8:9]
	v_div_scale_f64 v[10:11], vcc_lo, v[0:1], v[4:5], v[0:1]
	v_mul_f64 v[12:13], v[10:11], v[8:9]
	v_fma_f64 v[6:7], -v[6:7], v[12:13], v[10:11]
	v_div_fmas_f64 v[6:7], v[6:7], v[8:9], v[12:13]
	v_div_fixup_f64 v[0:1], v[6:7], v[4:5], v[0:1]
	v_div_scale_f64 v[6:7], null, v[4:5], v[4:5], -1.0
	v_rcp_f64_e32 v[8:9], v[6:7]
	v_fma_f64 v[10:11], -v[6:7], v[8:9], 1.0
	v_fma_f64 v[8:9], v[8:9], v[10:11], v[8:9]
	v_fma_f64 v[10:11], -v[6:7], v[8:9], 1.0
	v_fma_f64 v[8:9], v[8:9], v[10:11], v[8:9]
	v_div_scale_f64 v[10:11], vcc_lo, -1.0, v[4:5], -1.0
	v_mul_f64 v[12:13], v[10:11], v[8:9]
	v_fma_f64 v[6:7], -v[6:7], v[12:13], v[10:11]
	v_div_fmas_f64 v[6:7], v[6:7], v[8:9], v[12:13]
	v_div_fixup_f64 v[4:5], v[6:7], v[4:5], -1.0
                                        ; implicit-def: $vgpr6_vgpr7
	v_cmp_ngt_f64_e64 s0, |v[4:5]|, s[0:1]
	s_and_saveexec_b32 s1, s0
	s_xor_b32 s0, exec_lo, s1
; %bb.50:
	v_mul_f64 v[6:7], s[12:13], v[0:1]
                                        ; implicit-def: $vgpr4_vgpr5
                                        ; implicit-def: $vgpr0_vgpr1
; %bb.51:
	s_andn2_saveexec_b32 s1, s0
	s_cbranch_execz .LBB0_53
; %bb.52:
	v_mul_f64 v[6:7], s[12:13], v[4:5]
	s_mov_b32 s4, 0x6a5dcb37
	s_mov_b32 s5, 0x3e5ade15
	v_mul_f64 v[8:9], v[6:7], s[2:3]
	s_mov_b32 s2, 0xfefa39ef
	s_mov_b32 s3, 0xbfe62e42
	v_cmp_nlt_f64_e32 vcc_lo, 0x40900000, v[6:7]
	v_cmp_ngt_f64_e64 s0, 0xc090cc00, v[6:7]
	v_rndne_f64_e32 v[8:9], v[8:9]
	v_fma_f64 v[10:11], v[8:9], s[2:3], v[6:7]
	s_mov_b32 s2, 0x3b39803f
	s_mov_b32 s3, 0xbc7abc9e
	v_cvt_i32_f64_e32 v16, v[8:9]
	v_fma_f64 v[10:11], v[8:9], s[2:3], v[10:11]
	s_mov_b32 s2, 0xfca7ab0c
	s_mov_b32 s3, 0x3e928af3
	v_fma_f64 v[12:13], v[10:11], s[4:5], s[2:3]
	s_mov_b32 s2, 0x623fde64
	s_mov_b32 s3, 0x3ec71dee
	v_fma_f64 v[12:13], v[10:11], v[12:13], s[2:3]
	s_mov_b32 s2, 0x7c89e6b0
	s_mov_b32 s3, 0x3efa0199
	v_fma_f64 v[12:13], v[10:11], v[12:13], s[2:3]
	s_mov_b32 s2, 0x14761f6e
	s_mov_b32 s3, 0x3f2a01a0
	v_fma_f64 v[12:13], v[10:11], v[12:13], s[2:3]
	s_mov_b32 s2, 0x1852b7b0
	s_mov_b32 s3, 0x3f56c16c
	v_fma_f64 v[12:13], v[10:11], v[12:13], s[2:3]
	s_mov_b32 s2, 0x11122322
	s_mov_b32 s3, 0x3f811111
	v_fma_f64 v[12:13], v[10:11], v[12:13], s[2:3]
	s_mov_b32 s2, 0x555502a1
	s_mov_b32 s3, 0x3fa55555
	v_fma_f64 v[12:13], v[10:11], v[12:13], s[2:3]
	s_mov_b32 s2, 0x55555511
	s_mov_b32 s3, 0x3fc55555
	v_fma_f64 v[12:13], v[10:11], v[12:13], s[2:3]
	s_mov_b32 s2, 11
	s_mov_b32 s3, 0x3fe00000
	v_fma_f64 v[12:13], v[10:11], v[12:13], s[2:3]
	v_fma_f64 v[12:13], v[10:11], v[12:13], 1.0
	v_fma_f64 v[8:9], v[10:11], v[12:13], 1.0
	v_ldexp_f64 v[8:9], v[8:9], v16
	v_add_f64 v[8:9], v[8:9], -1.0
	v_cndmask_b32_e32 v9, 0x7ff00000, v9, vcc_lo
	s_and_b32 vcc_lo, s0, vcc_lo
	v_cndmask_b32_e32 v6, 0, v8, vcc_lo
	v_cndmask_b32_e64 v7, 0xbff00000, v9, s0
	v_mul_f64 v[0:1], v[0:1], v[6:7]
	v_div_scale_f64 v[6:7], null, v[4:5], v[4:5], v[0:1]
	v_rcp_f64_e32 v[8:9], v[6:7]
	v_fma_f64 v[10:11], -v[6:7], v[8:9], 1.0
	v_fma_f64 v[8:9], v[8:9], v[10:11], v[8:9]
	v_fma_f64 v[10:11], -v[6:7], v[8:9], 1.0
	v_fma_f64 v[8:9], v[8:9], v[10:11], v[8:9]
	v_div_scale_f64 v[10:11], vcc_lo, v[0:1], v[4:5], v[0:1]
	v_mul_f64 v[12:13], v[10:11], v[8:9]
	v_fma_f64 v[6:7], -v[6:7], v[12:13], v[10:11]
	v_div_fmas_f64 v[6:7], v[6:7], v[8:9], v[12:13]
	v_div_fixup_f64 v[6:7], v[6:7], v[4:5], v[0:1]
.LBB0_53:
	s_or_b32 exec_lo, exec_lo, s1
	v_add_f64 v[0:1], v[52:53], v[6:7]
	s_mov_b32 s0, 0xaaaaaaab
	s_mov_b32 s1, 0x400aaaaa
	;; [unrolled: 1-line block ×6, first 2 shown]
	global_store_dwordx2 v[66:67], v[0:1], off
	v_add_f64 v[0:1], -v[96:97], s[0:1]
	v_mul_f64 v[4:5], v[0:1], s[2:3]
	v_cmp_ngt_f64_e64 s0, 0xc090cc00, v[0:1]
	v_rndne_f64_e32 v[4:5], v[4:5]
	v_fma_f64 v[6:7], v[4:5], s[4:5], v[0:1]
	v_fma_f64 v[6:7], v[4:5], s[6:7], v[6:7]
	v_cvt_i32_f64_e32 v4, v[4:5]
	v_fma_f64 v[8:9], v[6:7], s[14:15], s[8:9]
	v_fma_f64 v[8:9], v[6:7], v[8:9], s[16:17]
	v_fma_f64 v[8:9], v[6:7], v[8:9], s[18:19]
	v_fma_f64 v[8:9], v[6:7], v[8:9], s[20:21]
	v_fma_f64 v[8:9], v[6:7], v[8:9], s[22:23]
	v_fma_f64 v[8:9], v[6:7], v[8:9], s[24:25]
	v_fma_f64 v[8:9], v[6:7], v[8:9], s[26:27]
	v_fma_f64 v[8:9], v[6:7], v[8:9], s[28:29]
	v_fma_f64 v[8:9], v[6:7], v[8:9], s[30:31]
	v_fma_f64 v[8:9], v[6:7], v[8:9], 1.0
	v_fma_f64 v[6:7], v[6:7], v[8:9], 1.0
	v_ldexp_f64 v[4:5], v[6:7], v4
	v_add_f64 v[4:5], v[4:5], 1.0
	v_div_scale_f64 v[6:7], null, v[4:5], v[4:5], 1.0
	v_rcp_f64_e32 v[8:9], v[6:7]
	v_fma_f64 v[10:11], -v[6:7], v[8:9], 1.0
	v_fma_f64 v[8:9], v[8:9], v[10:11], v[8:9]
	v_fma_f64 v[10:11], -v[6:7], v[8:9], 1.0
	v_fma_f64 v[8:9], v[8:9], v[10:11], v[8:9]
	v_div_scale_f64 v[10:11], vcc_lo, 1.0, v[4:5], 1.0
	v_mul_f64 v[12:13], v[10:11], v[8:9]
	v_fma_f64 v[6:7], -v[6:7], v[12:13], v[10:11]
	v_div_fmas_f64 v[6:7], v[6:7], v[8:9], v[12:13]
	v_cmp_nlt_f64_e32 vcc_lo, 0x40900000, v[0:1]
	v_div_fixup_f64 v[4:5], v[6:7], v[4:5], 1.0
	v_cndmask_b32_e32 v5, 0, v5, vcc_lo
	s_and_b32 vcc_lo, s0, vcc_lo
	v_cndmask_b32_e32 v0, 0, v4, vcc_lo
	v_cndmask_b32_e64 v1, 0x3ff00000, v5, s0
	v_add_f64 v[4:5], 0x40440000, v[2:3]
	s_mov_b32 s0, 0x9999999a
	s_mov_b32 s1, 0x3fe99999
	v_add_f64 v[0:1], v[0:1], -v[118:119]
	v_mul_f64 v[4:5], v[4:5], v[4:5]
	v_div_scale_f64 v[6:7], null, 0xc09c2000, 0xc09c2000, v[4:5]
	v_rcp_f64_e32 v[8:9], v[6:7]
	v_fma_f64 v[10:11], -v[6:7], v[8:9], 1.0
	v_fma_f64 v[8:9], v[8:9], v[10:11], v[8:9]
	v_fma_f64 v[10:11], -v[6:7], v[8:9], 1.0
	v_fma_f64 v[8:9], v[8:9], v[10:11], v[8:9]
	v_div_scale_f64 v[10:11], vcc_lo, v[4:5], 0xc09c2000, v[4:5]
	v_mul_f64 v[12:13], v[10:11], v[8:9]
	v_fma_f64 v[6:7], -v[6:7], v[12:13], v[10:11]
	v_div_fmas_f64 v[6:7], v[6:7], v[8:9], v[12:13]
	v_div_fixup_f64 v[4:5], v[6:7], 0xc09c2000, v[4:5]
	v_mul_f64 v[6:7], v[4:5], s[2:3]
	v_cmp_nlt_f64_e32 vcc_lo, 0x40900000, v[4:5]
	v_rndne_f64_e32 v[6:7], v[6:7]
	v_fma_f64 v[8:9], v[6:7], s[4:5], v[4:5]
	v_fma_f64 v[8:9], v[6:7], s[6:7], v[8:9]
	v_cvt_i32_f64_e32 v6, v[6:7]
	v_fma_f64 v[10:11], v[8:9], s[14:15], s[8:9]
	v_fma_f64 v[10:11], v[8:9], v[10:11], s[16:17]
	;; [unrolled: 1-line block ×9, first 2 shown]
	v_fma_f64 v[10:11], v[8:9], v[10:11], 1.0
	v_fma_f64 v[8:9], v[8:9], v[10:11], 1.0
	v_ldexp_f64 v[6:7], v[8:9], v6
	v_fma_f64 v[6:7], 0x40230000, v[6:7], s[0:1]
	s_mov_b32 s0, 0xe2308c3a
	s_mov_b32 s1, 0x3e45798e
	v_cndmask_b32_e32 v6, 0, v6, vcc_lo
	v_cndmask_b32_e32 v7, 0x7ff00000, v7, vcc_lo
	v_cmp_ngt_f64_e32 vcc_lo, 0xc090cc00, v[4:5]
	v_cndmask_b32_e32 v7, 0x3fe99999, v7, vcc_lo
	v_cndmask_b32_e32 v6, 0x9999999a, v6, vcc_lo
	v_div_scale_f64 v[4:5], null, v[6:7], v[6:7], v[0:1]
	v_rcp_f64_e32 v[8:9], v[4:5]
	v_fma_f64 v[10:11], -v[4:5], v[8:9], 1.0
	v_fma_f64 v[8:9], v[8:9], v[10:11], v[8:9]
	v_fma_f64 v[10:11], -v[4:5], v[8:9], 1.0
	v_fma_f64 v[8:9], v[8:9], v[10:11], v[8:9]
	v_div_scale_f64 v[10:11], vcc_lo, v[0:1], v[6:7], v[0:1]
	v_mul_f64 v[12:13], v[10:11], v[8:9]
	v_fma_f64 v[4:5], -v[4:5], v[12:13], v[10:11]
	v_div_fmas_f64 v[4:5], v[4:5], v[8:9], v[12:13]
	v_div_fixup_f64 v[4:5], v[4:5], v[6:7], v[0:1]
	v_div_scale_f64 v[0:1], null, v[6:7], v[6:7], -1.0
	v_rcp_f64_e32 v[8:9], v[0:1]
	v_fma_f64 v[10:11], -v[0:1], v[8:9], 1.0
	v_fma_f64 v[8:9], v[8:9], v[10:11], v[8:9]
	v_fma_f64 v[10:11], -v[0:1], v[8:9], 1.0
	v_fma_f64 v[8:9], v[8:9], v[10:11], v[8:9]
	v_div_scale_f64 v[10:11], vcc_lo, -1.0, v[6:7], -1.0
	v_mul_f64 v[12:13], v[10:11], v[8:9]
	v_fma_f64 v[0:1], -v[0:1], v[12:13], v[10:11]
	v_div_fmas_f64 v[0:1], v[0:1], v[8:9], v[12:13]
	v_div_fixup_f64 v[6:7], v[0:1], v[6:7], -1.0
                                        ; implicit-def: $vgpr0_vgpr1
	v_cmp_ngt_f64_e64 s0, |v[6:7]|, s[0:1]
	s_and_saveexec_b32 s1, s0
	s_xor_b32 s0, exec_lo, s1
; %bb.54:
	v_mul_f64 v[0:1], s[12:13], v[4:5]
                                        ; implicit-def: $vgpr6_vgpr7
                                        ; implicit-def: $vgpr4_vgpr5
; %bb.55:
	s_andn2_saveexec_b32 s1, s0
	s_cbranch_execz .LBB0_57
; %bb.56:
	v_mul_f64 v[0:1], s[12:13], v[6:7]
	s_mov_b32 s4, 0x6a5dcb37
	s_mov_b32 s5, 0x3e5ade15
	v_mul_f64 v[8:9], v[0:1], s[2:3]
	s_mov_b32 s2, 0xfefa39ef
	s_mov_b32 s3, 0xbfe62e42
	v_cmp_nlt_f64_e32 vcc_lo, 0x40900000, v[0:1]
	v_cmp_ngt_f64_e64 s0, 0xc090cc00, v[0:1]
	v_rndne_f64_e32 v[8:9], v[8:9]
	v_fma_f64 v[10:11], v[8:9], s[2:3], v[0:1]
	s_mov_b32 s2, 0x3b39803f
	s_mov_b32 s3, 0xbc7abc9e
	v_cvt_i32_f64_e32 v16, v[8:9]
	v_fma_f64 v[10:11], v[8:9], s[2:3], v[10:11]
	s_mov_b32 s2, 0xfca7ab0c
	s_mov_b32 s3, 0x3e928af3
	v_fma_f64 v[12:13], v[10:11], s[4:5], s[2:3]
	s_mov_b32 s2, 0x623fde64
	s_mov_b32 s3, 0x3ec71dee
	;; [unrolled: 3-line block ×9, first 2 shown]
	v_fma_f64 v[12:13], v[10:11], v[12:13], s[2:3]
	v_fma_f64 v[12:13], v[10:11], v[12:13], 1.0
	v_fma_f64 v[8:9], v[10:11], v[12:13], 1.0
	v_ldexp_f64 v[8:9], v[8:9], v16
	v_add_f64 v[8:9], v[8:9], -1.0
	v_cndmask_b32_e32 v9, 0x7ff00000, v9, vcc_lo
	s_and_b32 vcc_lo, s0, vcc_lo
	v_cndmask_b32_e32 v0, 0, v8, vcc_lo
	v_cndmask_b32_e64 v1, 0xbff00000, v9, s0
	v_mul_f64 v[0:1], v[4:5], v[0:1]
	v_div_scale_f64 v[4:5], null, v[6:7], v[6:7], v[0:1]
	v_rcp_f64_e32 v[8:9], v[4:5]
	v_fma_f64 v[10:11], -v[4:5], v[8:9], 1.0
	v_fma_f64 v[8:9], v[8:9], v[10:11], v[8:9]
	v_fma_f64 v[10:11], -v[4:5], v[8:9], 1.0
	v_fma_f64 v[8:9], v[8:9], v[10:11], v[8:9]
	v_div_scale_f64 v[10:11], vcc_lo, v[0:1], v[6:7], v[0:1]
	v_mul_f64 v[12:13], v[10:11], v[8:9]
	v_fma_f64 v[4:5], -v[4:5], v[12:13], v[10:11]
	v_div_fmas_f64 v[4:5], v[4:5], v[8:9], v[12:13]
	v_div_fixup_f64 v[0:1], v[4:5], v[6:7], v[0:1]
.LBB0_57:
	s_or_b32 exec_lo, exec_lo, s1
	s_clause 0x3
	buffer_load_dword v4, off, s[56:59], 0 offset:32
	buffer_load_dword v5, off, s[56:59], 0 offset:36
	;; [unrolled: 1-line block ×4, first 2 shown]
	s_mov_b32 s1, 0x3fe55555
	s_mov_b32 s0, 0x55555555
	;; [unrolled: 1-line block ×6, first 2 shown]
	s_clause 0x1
	buffer_load_dword v80, off, s[56:59], 0 offset:80
	buffer_load_dword v81, off, s[56:59], 0 offset:84
	v_add_f64 v[0:1], v[118:119], v[0:1]
	s_mov_b32 s6, 0x652b82fe
	s_mov_b32 s7, 0x3ff71547
	v_add_f64 v[94:95], v[58:59], -v[42:43]
	global_store_dwordx2 v[36:37], v[0:1], off
	v_mul_f64 v[0:1], v[90:91], v[90:91]
	v_mul_f64 v[0:1], v[90:91], v[0:1]
	buffer_store_dword v0, off, s[56:59], 0 offset:384 ; 4-byte Folded Spill
	buffer_store_dword v1, off, s[56:59], 0 offset:388 ; 4-byte Folded Spill
	s_clause 0x1
	buffer_load_dword v98, off, s[56:59], 0 offset:96
	buffer_load_dword v99, off, s[56:59], 0 offset:100
	s_waitcnt vmcnt(4)
	v_mul_f64 v[68:69], v[4:5], v[6:7]
	v_mul_f64 v[4:5], v[4:5], 0.5
	v_mul_f64 v[26:27], v[4:5], v[6:7]
	v_div_scale_f64 v[4:5], null, v[42:43], v[42:43], v[108:109]
	v_rcp_f64_e32 v[6:7], v[4:5]
	v_fma_f64 v[8:9], -v[4:5], v[6:7], 1.0
	v_mul_f64 v[0:1], v[0:1], v[108:109]
	v_fma_f64 v[6:7], v[6:7], v[8:9], v[6:7]
	v_fma_f64 v[8:9], -v[4:5], v[6:7], 1.0
	v_fma_f64 v[6:7], v[6:7], v[8:9], v[6:7]
	v_div_scale_f64 v[8:9], vcc_lo, v[108:109], v[42:43], v[108:109]
	v_mul_f64 v[10:11], v[8:9], v[6:7]
	v_fma_f64 v[4:5], -v[4:5], v[10:11], v[8:9]
	v_div_fmas_f64 v[4:5], v[4:5], v[6:7], v[10:11]
	v_div_fixup_f64 v[4:5], v[4:5], v[42:43], v[108:109]
	v_frexp_mant_f64_e32 v[6:7], v[4:5]
	v_frexp_exp_i32_f64_e32 v8, v[4:5]
	v_cmp_gt_f64_e32 vcc_lo, s[0:1], v[6:7]
	s_mov_b32 s0, 0x55555780
	v_cndmask_b32_e64 v9, 0, 1, vcc_lo
	v_subrev_co_ci_u32_e64 v28, null, 0, v8, vcc_lo
	v_cmp_class_f64_e64 vcc_lo, v[4:5], 0x204
	v_ldexp_f64 v[6:7], v[6:7], v9
	v_add_f64 v[10:11], v[6:7], 1.0
	v_add_f64 v[8:9], v[6:7], -1.0
	v_add_f64 v[12:13], v[10:11], -1.0
	v_add_f64 v[6:7], v[6:7], -v[12:13]
	v_rcp_f64_e32 v[12:13], v[10:11]
	v_fma_f64 v[16:17], -v[10:11], v[12:13], 1.0
	v_fma_f64 v[12:13], v[16:17], v[12:13], v[12:13]
	v_fma_f64 v[16:17], -v[10:11], v[12:13], 1.0
	v_fma_f64 v[12:13], v[16:17], v[12:13], v[12:13]
	v_mul_f64 v[16:17], v[8:9], v[12:13]
	v_mul_f64 v[20:21], v[10:11], v[16:17]
	v_fma_f64 v[10:11], v[16:17], v[10:11], -v[20:21]
	v_fma_f64 v[6:7], v[16:17], v[6:7], v[10:11]
	v_add_f64 v[10:11], v[20:21], v[6:7]
	v_add_f64 v[24:25], v[8:9], -v[10:11]
	v_add_f64 v[20:21], v[10:11], -v[20:21]
	;; [unrolled: 1-line block ×5, first 2 shown]
	v_add_f64 v[6:7], v[6:7], v[8:9]
	v_add_f64 v[6:7], v[24:25], v[6:7]
	v_mul_f64 v[6:7], v[12:13], v[6:7]
	v_add_f64 v[8:9], v[16:17], v[6:7]
	v_add_f64 v[10:11], v[8:9], -v[16:17]
	v_ldexp_f64 v[16:17], v[8:9], 1
	v_add_f64 v[6:7], v[6:7], -v[10:11]
	v_mul_f64 v[10:11], v[8:9], v[8:9]
	v_ldexp_f64 v[6:7], v[6:7], 1
	v_fma_f64 v[12:13], v[10:11], s[4:5], s[2:3]
	s_mov_b32 s2, 0xd7f4df2e
	s_mov_b32 s3, 0x3fc7474d
	v_mul_f64 v[8:9], v[8:9], v[10:11]
	s_mov_b32 s5, 0x3c7abc9e
	s_mov_b32 s4, 0x3b39803f
	v_fma_f64 v[12:13], v[10:11], v[12:13], s[2:3]
	s_mov_b32 s2, 0x16291751
	s_mov_b32 s3, 0x3fcc71c0
	v_fma_f64 v[12:13], v[10:11], v[12:13], s[2:3]
	;; [unrolled: 3-line block ×5, first 2 shown]
	v_mul_f64 v[8:9], v[8:9], v[12:13]
	v_add_f64 v[10:11], v[16:17], v[8:9]
	v_add_f64 v[12:13], v[10:11], -v[16:17]
	v_add_f64 v[8:9], v[8:9], -v[12:13]
	v_add_f64 v[6:7], v[6:7], v[8:9]
	v_add_f64 v[8:9], v[10:11], v[6:7]
	v_add_f64 v[10:11], v[8:9], -v[10:11]
	v_add_f64 v[6:7], v[6:7], -v[10:11]
	v_cvt_f64_i32_e32 v[10:11], v28
	v_mul_f64 v[12:13], v[10:11], s[2:3]
	v_fma_f64 v[16:17], v[10:11], s[2:3], -v[12:13]
	s_mov_b32 s3, 0xbfe62e42
	v_fma_f64 v[10:11], v[10:11], s[4:5], v[16:17]
	s_mov_b32 s5, 0xbc7abc9e
	v_add_f64 v[16:17], v[12:13], v[10:11]
	v_add_f64 v[12:13], v[16:17], -v[12:13]
	v_add_f64 v[10:11], v[10:11], -v[12:13]
	v_add_f64 v[12:13], v[16:17], v[8:9]
	v_add_f64 v[20:21], v[12:13], -v[16:17]
	v_add_f64 v[24:25], v[12:13], -v[20:21]
	;; [unrolled: 1-line block ×4, first 2 shown]
	v_add_f64 v[8:9], v[8:9], v[16:17]
	v_add_f64 v[16:17], v[10:11], v[6:7]
	v_add_f64 v[20:21], v[16:17], -v[10:11]
	v_add_f64 v[8:9], v[16:17], v[8:9]
	v_add_f64 v[24:25], v[16:17], -v[20:21]
	v_add_f64 v[6:7], v[6:7], -v[20:21]
	;; [unrolled: 1-line block ×3, first 2 shown]
	v_add_f64 v[6:7], v[6:7], v[10:11]
	v_add_f64 v[10:11], v[12:13], v[8:9]
	v_add_f64 v[12:13], v[10:11], -v[12:13]
	v_add_f64 v[8:9], v[8:9], -v[12:13]
	v_add_f64 v[6:7], v[6:7], v[8:9]
	v_add_f64 v[6:7], v[10:11], v[6:7]
	v_cndmask_b32_e32 v6, v6, v4, vcc_lo
	v_cndmask_b32_e64 v7, -v7, -v5, vcc_lo
	v_cmp_ngt_f64_e32 vcc_lo, 0, v[4:5]
	v_cndmask_b32_e32 v7, 0xfff80000, v7, vcc_lo
	v_cmp_nge_f64_e32 vcc_lo, 0, v[4:5]
	v_cndmask_b32_e32 v6, 0, v6, vcc_lo
	v_cmp_neq_f64_e32 vcc_lo, 0, v[4:5]
	v_cndmask_b32_e32 v7, 0x7ff00000, v7, vcc_lo
	v_mul_f64 v[4:5], v[26:27], v[6:7]
	v_div_scale_f64 v[6:7], null, v[18:19], v[18:19], v[4:5]
	v_rcp_f64_e32 v[8:9], v[6:7]
	v_fma_f64 v[10:11], -v[6:7], v[8:9], 1.0
	v_fma_f64 v[8:9], v[8:9], v[10:11], v[8:9]
	v_fma_f64 v[10:11], -v[6:7], v[8:9], 1.0
	v_fma_f64 v[8:9], v[8:9], v[10:11], v[8:9]
	v_div_scale_f64 v[10:11], vcc_lo, v[4:5], v[18:19], v[4:5]
	v_mul_f64 v[12:13], v[10:11], v[8:9]
	v_fma_f64 v[6:7], -v[6:7], v[12:13], v[10:11]
	v_add_f64 v[10:11], v[18:19], v[18:19]
	v_div_fmas_f64 v[6:7], v[6:7], v[8:9], v[12:13]
	v_div_fixup_f64 v[4:5], v[6:7], v[18:19], v[4:5]
	v_add_f64 v[4:5], v[2:3], v[4:5]
	s_waitcnt vmcnt(2)
	v_mul_f64 v[86:87], v[80:81], v[4:5]
	v_mul_f64 v[4:5], v[40:41], v[18:19]
	buffer_store_dword v40, off, s[56:59], 0 offset:184 ; 4-byte Folded Spill
	buffer_store_dword v41, off, s[56:59], 0 offset:188 ; 4-byte Folded Spill
	v_mul_f64 v[4:5], v[2:3], v[4:5]
	v_div_scale_f64 v[6:7], null, v[68:69], v[68:69], v[4:5]
	v_rcp_f64_e32 v[8:9], v[6:7]
	v_fma_f64 v[12:13], -v[6:7], v[8:9], 1.0
	v_fma_f64 v[8:9], v[8:9], v[12:13], v[8:9]
	v_fma_f64 v[12:13], -v[6:7], v[8:9], 1.0
	v_fma_f64 v[8:9], v[8:9], v[12:13], v[8:9]
	v_div_scale_f64 v[12:13], vcc_lo, v[4:5], v[68:69], v[4:5]
	v_mul_f64 v[16:17], v[12:13], v[8:9]
	v_fma_f64 v[6:7], -v[6:7], v[16:17], v[12:13]
	v_div_fmas_f64 v[6:7], v[6:7], v[8:9], v[16:17]
	v_div_fixup_f64 v[4:5], v[6:7], v[68:69], v[4:5]
	v_mul_f64 v[6:7], v[4:5], s[6:7]
	v_cmp_nlt_f64_e32 vcc_lo, 0x40900000, v[4:5]
	v_cmp_ngt_f64_e64 s0, 0xc090cc00, v[4:5]
	v_rndne_f64_e32 v[6:7], v[6:7]
	v_fma_f64 v[8:9], v[6:7], s[2:3], v[4:5]
	v_mul_f64 v[4:5], v[82:83], v[82:83]
	v_fma_f64 v[8:9], v[6:7], s[4:5], v[8:9]
	v_cvt_i32_f64_e32 v6, v[6:7]
	v_mul_f64 v[62:63], v[82:83], v[4:5]
	v_fma_f64 v[12:13], v[8:9], s[14:15], s[8:9]
	s_waitcnt vmcnt(0)
	v_mul_f64 v[4:5], v[98:99], v[62:63]
	v_fma_f64 v[12:13], v[8:9], v[12:13], s[16:17]
	v_mul_f64 v[4:5], v[42:43], v[4:5]
	v_fma_f64 v[12:13], v[8:9], v[12:13], s[18:19]
	v_fma_f64 v[12:13], v[8:9], v[12:13], s[20:21]
	;; [unrolled: 1-line block ×7, first 2 shown]
	v_fma_f64 v[12:13], v[8:9], v[12:13], 1.0
	v_fma_f64 v[8:9], v[8:9], v[12:13], 1.0
	v_ldexp_f64 v[6:7], v[8:9], v6
	v_cndmask_b32_e32 v7, 0x7ff00000, v7, vcc_lo
	s_and_b32 vcc_lo, s0, vcc_lo
	v_cndmask_b32_e32 v96, 0, v6, vcc_lo
	v_cndmask_b32_e64 v97, 0, v7, s0
	v_add_f64 v[6:7], v[40:41], -1.0
	buffer_store_dword v6, off, s[56:59], 0 offset:392 ; 4-byte Folded Spill
	buffer_store_dword v7, off, s[56:59], 0 offset:396 ; 4-byte Folded Spill
	s_clause 0x1
	buffer_load_dword v40, off, s[56:59], 0 offset:24
	buffer_load_dword v41, off, s[56:59], 0 offset:28
	v_mul_f64 v[6:7], v[6:7], v[18:19]
	v_mul_f64 v[6:7], v[2:3], v[6:7]
	v_div_scale_f64 v[8:9], null, v[68:69], v[68:69], v[6:7]
	v_rcp_f64_e32 v[12:13], v[8:9]
	v_fma_f64 v[16:17], -v[8:9], v[12:13], 1.0
	v_fma_f64 v[12:13], v[12:13], v[16:17], v[12:13]
	v_fma_f64 v[16:17], -v[8:9], v[12:13], 1.0
	v_fma_f64 v[12:13], v[12:13], v[16:17], v[12:13]
	v_div_scale_f64 v[16:17], vcc_lo, v[6:7], v[68:69], v[6:7]
	v_mul_f64 v[20:21], v[16:17], v[12:13]
	v_fma_f64 v[8:9], -v[8:9], v[20:21], v[16:17]
	v_div_fmas_f64 v[8:9], v[8:9], v[12:13], v[20:21]
	v_div_fixup_f64 v[6:7], v[8:9], v[68:69], v[6:7]
	v_mul_f64 v[8:9], v[6:7], s[6:7]
	v_cmp_nlt_f64_e32 vcc_lo, 0x40900000, v[6:7]
	v_cmp_ngt_f64_e64 s0, 0xc090cc00, v[6:7]
	v_rndne_f64_e32 v[8:9], v[8:9]
	v_fma_f64 v[12:13], v[8:9], s[2:3], v[6:7]
	v_fma_f64 v[12:13], v[8:9], s[4:5], v[12:13]
	v_cvt_i32_f64_e32 v8, v[8:9]
	v_fma_f64 v[16:17], v[12:13], s[14:15], s[8:9]
	v_fma_f64 v[16:17], v[12:13], v[16:17], s[16:17]
	;; [unrolled: 1-line block ×9, first 2 shown]
	v_fma_f64 v[16:17], v[12:13], v[16:17], 1.0
	v_fma_f64 v[12:13], v[12:13], v[16:17], 1.0
	v_mul_f64 v[16:17], v[42:43], v[22:23]
	v_ldexp_f64 v[8:9], v[12:13], v8
	v_cndmask_b32_e32 v9, 0x7ff00000, v9, vcc_lo
	s_and_b32 vcc_lo, s0, vcc_lo
	v_cndmask_b32_e32 v36, 0, v8, vcc_lo
	v_cndmask_b32_e64 v37, 0, v9, s0
	s_mov_b32 s0, 0xe2308c3a
	s_mov_b32 s1, 0x3e45798e
	v_mul_f64 v[4:5], v[4:5], v[36:37]
	v_fma_f64 v[0:1], v[0:1], v[96:97], -v[4:5]
	buffer_store_dword v0, off, s[56:59], 0 offset:408 ; 4-byte Folded Spill
	buffer_store_dword v1, off, s[56:59], 0 offset:412 ; 4-byte Folded Spill
	buffer_store_dword v32, off, s[56:59], 0 offset:176 ; 4-byte Folded Spill
	buffer_store_dword v33, off, s[56:59], 0 offset:180 ; 4-byte Folded Spill
	s_clause 0x1
	buffer_load_dword v4, off, s[56:59], 0 offset:360
	buffer_load_dword v5, off, s[56:59], 0 offset:364
	s_waitcnt vmcnt(2)
	v_mul_f64 v[0:1], v[40:41], v[0:1]
	v_fma_f64 v[6:7], v[32:33], v[36:37], 1.0
	v_mul_f64 v[32:33], v[48:49], v[48:49]
	s_waitcnt vmcnt(0)
	v_add_f64 v[4:5], v[4:5], v[108:109]
	buffer_store_dword v4, off, s[56:59], 0 offset:360 ; 4-byte Folded Spill
	buffer_store_dword v5, off, s[56:59], 0 offset:364 ; 4-byte Folded Spill
	;; [unrolled: 1-line block ×4, first 2 shown]
	v_mul_f64 v[4:5], v[4:5], v[6:7]
	v_mul_f64 v[6:7], v[30:31], v[30:31]
	v_fma_f64 v[6:7], v[30:31], v[6:7], v[62:63]
	v_mul_f64 v[30:31], v[42:43], v[42:43]
	buffer_store_dword v6, off, s[56:59], 0 offset:416 ; 4-byte Folded Spill
	buffer_store_dword v7, off, s[56:59], 0 offset:420 ; 4-byte Folded Spill
	v_mul_f64 v[78:79], v[6:7], v[4:5]
	v_div_scale_f64 v[4:5], null, v[78:79], v[78:79], v[0:1]
	v_rcp_f64_e32 v[6:7], v[4:5]
	v_fma_f64 v[8:9], -v[4:5], v[6:7], 1.0
	v_fma_f64 v[6:7], v[6:7], v[8:9], v[6:7]
	v_fma_f64 v[8:9], -v[4:5], v[6:7], 1.0
	v_fma_f64 v[6:7], v[6:7], v[8:9], v[6:7]
	v_div_scale_f64 v[8:9], vcc_lo, v[0:1], v[78:79], v[0:1]
	v_mul_f64 v[12:13], v[8:9], v[6:7]
	v_fma_f64 v[4:5], -v[4:5], v[12:13], v[8:9]
	v_div_fmas_f64 v[4:5], v[4:5], v[6:7], v[12:13]
	v_div_fixup_f64 v[0:1], v[4:5], v[78:79], v[0:1]
	s_clause 0x1
	buffer_load_dword v4, off, s[56:59], 0 offset:352
	buffer_load_dword v5, off, s[56:59], 0 offset:356
	buffer_store_dword v86, off, s[56:59], 0 offset:424 ; 4-byte Folded Spill
	buffer_store_dword v87, off, s[56:59], 0 offset:428 ; 4-byte Folded Spill
	s_waitcnt vmcnt(0)
	v_add_f64 v[24:25], v[42:43], v[4:5]
	v_div_scale_f64 v[4:5], null, v[24:25], v[24:25], v[16:17]
	v_rcp_f64_e32 v[6:7], v[4:5]
	v_fma_f64 v[8:9], -v[4:5], v[6:7], 1.0
	v_fma_f64 v[6:7], v[6:7], v[8:9], v[6:7]
	v_fma_f64 v[8:9], -v[4:5], v[6:7], 1.0
	v_fma_f64 v[6:7], v[6:7], v[8:9], v[6:7]
	v_div_scale_f64 v[8:9], vcc_lo, v[16:17], v[24:25], v[16:17]
	v_mul_f64 v[12:13], v[8:9], v[6:7]
	v_fma_f64 v[4:5], -v[4:5], v[12:13], v[8:9]
	v_div_fmas_f64 v[4:5], v[4:5], v[6:7], v[12:13]
	v_div_scale_f64 v[6:7], null, v[30:31], v[30:31], v[32:33]
	v_div_fixup_f64 v[4:5], v[4:5], v[24:25], v[16:17]
	v_rcp_f64_e32 v[8:9], v[6:7]
	buffer_store_dword v4, off, s[56:59], 0 offset:432 ; 4-byte Folded Spill
	buffer_store_dword v5, off, s[56:59], 0 offset:436 ; 4-byte Folded Spill
	v_fma_f64 v[12:13], -v[6:7], v[8:9], 1.0
	v_fma_f64 v[8:9], v[8:9], v[12:13], v[8:9]
	v_fma_f64 v[12:13], -v[6:7], v[8:9], 1.0
	v_fma_f64 v[8:9], v[8:9], v[12:13], v[8:9]
	v_div_scale_f64 v[12:13], vcc_lo, v[32:33], v[30:31], v[32:33]
	v_mul_f64 v[20:21], v[12:13], v[8:9]
	v_fma_f64 v[6:7], -v[6:7], v[20:21], v[12:13]
	v_div_fmas_f64 v[6:7], v[6:7], v[8:9], v[20:21]
	v_div_fixup_f64 v[6:7], v[6:7], v[30:31], v[32:33]
	v_mul_f64 v[30:31], v[42:43], v[30:31]
	v_add_f64 v[48:49], v[6:7], 1.0
	v_div_scale_f64 v[6:7], null, v[48:49], v[48:49], v[34:35]
	v_rcp_f64_e32 v[8:9], v[6:7]
	v_fma_f64 v[12:13], -v[6:7], v[8:9], 1.0
	v_fma_f64 v[8:9], v[8:9], v[12:13], v[8:9]
	v_fma_f64 v[12:13], -v[6:7], v[8:9], 1.0
	v_fma_f64 v[8:9], v[8:9], v[12:13], v[8:9]
	v_div_scale_f64 v[12:13], vcc_lo, v[34:35], v[48:49], v[34:35]
	v_mul_f64 v[20:21], v[12:13], v[8:9]
	v_fma_f64 v[6:7], -v[6:7], v[20:21], v[12:13]
	v_mul_f64 v[12:13], v[44:45], v[64:65]
	v_add_f64 v[44:45], v[44:45], v[44:45]
	v_div_fmas_f64 v[6:7], v[6:7], v[8:9], v[20:21]
	v_add_f64 v[20:21], v[42:43], v[64:65]
	v_add_f64 v[8:9], v[114:115], -v[42:43]
	v_mul_f64 v[44:45], v[44:45], v[64:65]
	v_div_fixup_f64 v[6:7], v[6:7], v[48:49], v[34:35]
	v_mul_f64 v[66:67], v[20:21], v[20:21]
	v_add_f64 v[34:35], v[34:35], v[34:35]
	v_div_scale_f64 v[28:29], null, v[66:67], v[66:67], v[12:13]
	v_mul_f64 v[20:21], v[20:21], v[66:67]
	v_mul_f64 v[32:33], v[32:33], v[34:35]
	;; [unrolled: 1-line block ×3, first 2 shown]
	v_rcp_f64_e32 v[38:39], v[28:29]
	v_mul_f64 v[30:31], v[30:31], v[34:35]
	v_fma_f64 v[46:47], -v[28:29], v[38:39], 1.0
	v_div_scale_f64 v[34:35], null, v[30:31], v[30:31], v[32:33]
	v_fma_f64 v[38:39], v[38:39], v[46:47], v[38:39]
	v_rcp_f64_e32 v[48:49], v[34:35]
	v_fma_f64 v[46:47], -v[28:29], v[38:39], 1.0
	v_fma_f64 v[38:39], v[38:39], v[46:47], v[38:39]
	v_div_scale_f64 v[46:47], vcc_lo, v[12:13], v[66:67], v[12:13]
	v_mul_f64 v[72:73], v[46:47], v[38:39]
	v_fma_f64 v[28:29], -v[28:29], v[72:73], v[46:47]
	v_div_fmas_f64 v[28:29], v[28:29], v[38:39], v[72:73]
	v_div_fixup_f64 v[12:13], v[28:29], v[66:67], v[12:13]
	v_add_f64 v[72:73], v[12:13], 1.0
	v_div_scale_f64 v[12:13], null, v[72:73], v[72:73], 1.0
	v_mul_f64 v[64:65], v[72:73], v[72:73]
	v_rcp_f64_e32 v[28:29], v[12:13]
	v_mul_f64 v[20:21], v[20:21], v[64:65]
	v_fma_f64 v[38:39], -v[12:13], v[28:29], 1.0
	v_div_scale_f64 v[64:65], null, v[20:21], v[20:21], v[44:45]
	v_fma_f64 v[28:29], v[28:29], v[38:39], v[28:29]
	v_rcp_f64_e32 v[66:67], v[64:65]
	v_fma_f64 v[38:39], -v[12:13], v[28:29], 1.0
	v_fma_f64 v[28:29], v[28:29], v[38:39], v[28:29]
	v_div_scale_f64 v[38:39], vcc_lo, 1.0, v[72:73], 1.0
	v_mul_f64 v[46:47], v[38:39], v[28:29]
	v_fma_f64 v[12:13], -v[12:13], v[46:47], v[38:39]
	v_div_fmas_f64 v[12:13], v[12:13], v[28:29], v[46:47]
	v_div_fixup_f64 v[28:29], v[12:13], v[72:73], 1.0
	v_fma_f64 v[12:13], v[8:9], v[70:71], -v[6:7]
	v_fma_f64 v[72:73], -v[64:65], v[66:67], 1.0
	v_mul_f64 v[12:13], v[104:105], v[12:13]
	v_fma_f64 v[66:67], v[66:67], v[72:73], v[66:67]
	v_div_scale_f64 v[38:39], null, v[92:93], v[92:93], v[12:13]
	v_fma_f64 v[72:73], -v[64:65], v[66:67], 1.0
	v_rcp_f64_e32 v[46:47], v[38:39]
	v_fma_f64 v[66:67], v[66:67], v[72:73], v[66:67]
	v_fma_f64 v[74:75], -v[38:39], v[46:47], 1.0
	v_fma_f64 v[46:47], v[46:47], v[74:75], v[46:47]
	v_fma_f64 v[74:75], -v[38:39], v[46:47], 1.0
	v_fma_f64 v[46:47], v[46:47], v[74:75], v[46:47]
	v_div_scale_f64 v[74:75], vcc_lo, v[12:13], v[92:93], v[12:13]
	v_mul_f64 v[84:85], v[74:75], v[46:47]
	v_fma_f64 v[38:39], -v[38:39], v[84:85], v[74:75]
	v_div_fmas_f64 v[38:39], v[38:39], v[46:47], v[84:85]
	v_div_fixup_f64 v[12:13], v[38:39], v[92:93], v[12:13]
	v_fma_f64 v[38:39], v[0:1], -2.0, v[86:87]
	v_add_f64 v[38:39], v[4:5], v[38:39]
	s_clause 0x1
	buffer_load_dword v4, off, s[56:59], 0
	buffer_load_dword v5, off, s[56:59], 0 offset:4
	buffer_store_dword v62, off, s[56:59], 0 offset:352 ; 4-byte Folded Spill
	buffer_store_dword v63, off, s[56:59], 0 offset:356 ; 4-byte Folded Spill
	s_waitcnt vmcnt(0)
	v_mul_f64 v[46:47], v[4:5], v[38:39]
	v_mul_f64 v[38:39], v[10:11], v[92:93]
	v_div_scale_f64 v[74:75], null, v[38:39], v[38:39], v[46:47]
	v_rcp_f64_e32 v[84:85], v[74:75]
	v_fma_f64 v[86:87], -v[74:75], v[84:85], 1.0
	v_fma_f64 v[84:85], v[84:85], v[86:87], v[84:85]
	v_fma_f64 v[86:87], -v[74:75], v[84:85], 1.0
	v_fma_f64 v[84:85], v[84:85], v[86:87], v[84:85]
	v_div_scale_f64 v[86:87], vcc_lo, v[46:47], v[38:39], v[46:47]
	v_mul_f64 v[106:107], v[86:87], v[84:85]
	v_fma_f64 v[74:75], -v[74:75], v[106:107], v[86:87]
	v_div_fmas_f64 v[74:75], v[74:75], v[84:85], v[106:107]
	v_div_scale_f64 v[72:73], vcc_lo, v[44:45], v[20:21], v[44:45]
	v_div_fixup_f64 v[46:47], v[74:75], v[38:39], v[46:47]
	v_mul_f64 v[74:75], v[72:73], v[66:67]
	v_add_f64 v[12:13], v[12:13], -v[46:47]
	v_fma_f64 v[64:65], -v[64:65], v[74:75], v[72:73]
	v_fma_f64 v[46:47], v[94:95], v[102:103], v[12:13]
	v_div_fmas_f64 v[64:65], v[64:65], v[66:67], v[74:75]
	v_mul_f64 v[12:13], v[28:29], v[46:47]
	v_div_fixup_f64 v[20:21], v[64:65], v[20:21], v[44:45]
	v_mul_f64 v[44:45], v[98:99], v[40:41]
	v_mul_f64 v[20:21], v[20:21], v[46:47]
	;; [unrolled: 1-line block ×4, first 2 shown]
	v_div_scale_f64 v[64:65], null, v[78:79], v[78:79], v[44:45]
	v_rcp_f64_e32 v[66:67], v[64:65]
	v_fma_f64 v[72:73], -v[64:65], v[66:67], 1.0
	v_fma_f64 v[66:67], v[66:67], v[72:73], v[66:67]
	v_fma_f64 v[72:73], -v[64:65], v[66:67], 1.0
	v_fma_f64 v[66:67], v[66:67], v[72:73], v[66:67]
	v_div_scale_f64 v[72:73], vcc_lo, v[44:45], v[78:79], v[44:45]
	v_mul_f64 v[74:75], v[72:73], v[66:67]
	v_fma_f64 v[64:65], -v[64:65], v[74:75], v[72:73]
	v_div_fmas_f64 v[64:65], v[64:65], v[66:67], v[74:75]
	v_div_fixup_f64 v[44:45], v[64:65], v[78:79], v[44:45]
	v_fma_f64 v[64:65], -v[34:35], v[48:49], 1.0
	v_fma_f64 v[48:49], v[48:49], v[64:65], v[48:49]
	v_fma_f64 v[64:65], -v[34:35], v[48:49], 1.0
	v_fma_f64 v[48:49], v[48:49], v[64:65], v[48:49]
	v_div_scale_f64 v[64:65], vcc_lo, v[32:33], v[30:31], v[32:33]
	v_mul_f64 v[66:67], v[64:65], v[48:49]
	v_fma_f64 v[34:35], -v[34:35], v[66:67], v[64:65]
	v_div_fmas_f64 v[34:35], v[34:35], v[48:49], v[66:67]
	v_div_fixup_f64 v[30:31], v[34:35], v[30:31], v[32:33]
	v_div_scale_f64 v[32:33], null, v[24:25], v[24:25], v[22:23]
	v_rcp_f64_e32 v[34:35], v[32:33]
	v_fma_f64 v[48:49], -v[32:33], v[34:35], 1.0
	v_fma_f64 v[34:35], v[34:35], v[48:49], v[34:35]
	v_fma_f64 v[48:49], -v[32:33], v[34:35], 1.0
	v_fma_f64 v[34:35], v[34:35], v[48:49], v[34:35]
	v_div_scale_f64 v[48:49], vcc_lo, v[22:23], v[24:25], v[22:23]
	v_mul_f64 v[64:65], v[48:49], v[34:35]
	v_fma_f64 v[32:33], -v[32:33], v[64:65], v[48:49]
	v_div_fmas_f64 v[32:33], v[32:33], v[34:35], v[64:65]
	v_div_fixup_f64 v[22:23], v[32:33], v[24:25], v[22:23]
	v_mul_f64 v[24:25], v[24:25], v[24:25]
	v_div_scale_f64 v[32:33], null, v[24:25], v[24:25], v[16:17]
	v_rcp_f64_e32 v[34:35], v[32:33]
	v_fma_f64 v[48:49], -v[32:33], v[34:35], 1.0
	v_fma_f64 v[34:35], v[34:35], v[48:49], v[34:35]
	v_fma_f64 v[48:49], -v[32:33], v[34:35], 1.0
	v_fma_f64 v[34:35], v[34:35], v[48:49], v[34:35]
	v_div_scale_f64 v[48:49], vcc_lo, v[16:17], v[24:25], v[16:17]
	v_mul_f64 v[64:65], v[48:49], v[34:35]
	v_fma_f64 v[32:33], -v[32:33], v[64:65], v[48:49]
	v_div_fmas_f64 v[32:33], v[32:33], v[34:35], v[64:65]
	v_div_fixup_f64 v[16:17], v[32:33], v[24:25], v[16:17]
	v_add_f64 v[16:17], v[22:23], -v[16:17]
	v_mul_f64 v[22:23], v[42:43], v[18:19]
	v_div_scale_f64 v[24:25], null, v[22:23], v[22:23], v[26:27]
	v_rcp_f64_e32 v[32:33], v[24:25]
	v_fma_f64 v[34:35], -v[24:25], v[32:33], 1.0
	v_fma_f64 v[32:33], v[32:33], v[34:35], v[32:33]
	v_fma_f64 v[34:35], -v[24:25], v[32:33], 1.0
	v_fma_f64 v[32:33], v[32:33], v[34:35], v[32:33]
	v_div_scale_f64 v[34:35], vcc_lo, v[26:27], v[22:23], v[26:27]
	v_mul_f64 v[48:49], v[34:35], v[32:33]
	v_fma_f64 v[24:25], -v[24:25], v[48:49], v[34:35]
	v_div_fmas_f64 v[24:25], v[24:25], v[32:33], v[48:49]
	v_div_fixup_f64 v[22:23], v[24:25], v[22:23], v[26:27]
	v_add_f64 v[24:25], -v[70:71], -v[30:31]
	v_mul_f64 v[24:25], v[104:105], v[24:25]
	v_div_scale_f64 v[26:27], null, v[92:93], v[92:93], v[24:25]
	v_rcp_f64_e32 v[30:31], v[26:27]
	v_fma_f64 v[32:33], -v[26:27], v[30:31], 1.0
	v_fma_f64 v[30:31], v[30:31], v[32:33], v[30:31]
	v_fma_f64 v[32:33], -v[26:27], v[30:31], 1.0
	v_fma_f64 v[30:31], v[30:31], v[32:33], v[30:31]
	v_div_scale_f64 v[32:33], vcc_lo, v[24:25], v[92:93], v[24:25]
	v_mul_f64 v[34:35], v[32:33], v[30:31]
	v_fma_f64 v[26:27], -v[26:27], v[34:35], v[32:33]
	v_div_fmas_f64 v[26:27], v[26:27], v[30:31], v[34:35]
	v_div_fixup_f64 v[24:25], v[26:27], v[92:93], v[24:25]
	v_add_f64 v[26:27], v[44:45], v[44:45]
	v_add_f64 v[24:25], v[24:25], -v[102:103]
	v_fma_f64 v[22:23], v[80:81], v[22:23], v[26:27]
	v_add_f64 v[16:17], v[16:17], v[22:23]
	v_mul_f64 v[16:17], v[4:5], v[16:17]
	v_div_scale_f64 v[22:23], null, v[38:39], v[38:39], v[16:17]
	v_rcp_f64_e32 v[26:27], v[22:23]
	v_fma_f64 v[30:31], -v[22:23], v[26:27], 1.0
	v_fma_f64 v[26:27], v[26:27], v[30:31], v[26:27]
	v_fma_f64 v[30:31], -v[22:23], v[26:27], 1.0
	v_fma_f64 v[26:27], v[26:27], v[30:31], v[26:27]
	v_div_scale_f64 v[30:31], vcc_lo, v[16:17], v[38:39], v[16:17]
	v_mul_f64 v[32:33], v[30:31], v[26:27]
	v_fma_f64 v[22:23], -v[22:23], v[32:33], v[30:31]
	v_div_fmas_f64 v[22:23], v[22:23], v[26:27], v[32:33]
                                        ; implicit-def: $vgpr26_vgpr27
	v_div_fixup_f64 v[16:17], v[22:23], v[38:39], v[16:17]
	v_add_f64 v[16:17], v[24:25], -v[16:17]
	v_fma_f64 v[16:17], v[28:29], v[16:17], v[20:21]
	v_cmp_ngt_f64_e64 s0, |v[16:17]|, s[0:1]
	s_and_saveexec_b32 s1, s0
	s_xor_b32 s0, exec_lo, s1
; %bb.58:
	v_mul_f64 v[26:27], s[12:13], v[12:13]
                                        ; implicit-def: $vgpr16_vgpr17
                                        ; implicit-def: $vgpr12_vgpr13
; %bb.59:
	s_andn2_saveexec_b32 s1, s0
	s_cbranch_execz .LBB0_61
; %bb.60:
	v_mul_f64 v[20:21], s[12:13], v[16:17]
	s_mov_b32 s2, 0x652b82fe
	s_mov_b32 s3, 0x3ff71547
	;; [unrolled: 1-line block ×4, first 2 shown]
	v_mul_f64 v[22:23], v[20:21], s[2:3]
	s_mov_b32 s2, 0xfefa39ef
	s_mov_b32 s3, 0xbfe62e42
	v_cmp_nlt_f64_e32 vcc_lo, 0x40900000, v[20:21]
	v_cmp_ngt_f64_e64 s0, 0xc090cc00, v[20:21]
	v_rndne_f64_e32 v[22:23], v[22:23]
	v_fma_f64 v[24:25], v[22:23], s[2:3], v[20:21]
	s_mov_b32 s2, 0x3b39803f
	s_mov_b32 s3, 0xbc7abc9e
	v_cvt_i32_f64_e32 v28, v[22:23]
	v_fma_f64 v[24:25], v[22:23], s[2:3], v[24:25]
	s_mov_b32 s2, 0xfca7ab0c
	s_mov_b32 s3, 0x3e928af3
	v_fma_f64 v[26:27], v[24:25], s[4:5], s[2:3]
	s_mov_b32 s2, 0x623fde64
	s_mov_b32 s3, 0x3ec71dee
	;; [unrolled: 3-line block ×9, first 2 shown]
	v_fma_f64 v[26:27], v[24:25], v[26:27], s[2:3]
	v_fma_f64 v[26:27], v[24:25], v[26:27], 1.0
	v_fma_f64 v[22:23], v[24:25], v[26:27], 1.0
	v_ldexp_f64 v[22:23], v[22:23], v28
	v_add_f64 v[22:23], v[22:23], -1.0
	v_cndmask_b32_e32 v23, 0x7ff00000, v23, vcc_lo
	s_and_b32 vcc_lo, s0, vcc_lo
	v_cndmask_b32_e32 v20, 0, v22, vcc_lo
	v_cndmask_b32_e64 v21, 0xbff00000, v23, s0
	v_mul_f64 v[12:13], v[12:13], v[20:21]
	v_div_scale_f64 v[20:21], null, v[16:17], v[16:17], v[12:13]
	v_rcp_f64_e32 v[22:23], v[20:21]
	v_fma_f64 v[24:25], -v[20:21], v[22:23], 1.0
	v_fma_f64 v[22:23], v[22:23], v[24:25], v[22:23]
	v_fma_f64 v[24:25], -v[20:21], v[22:23], 1.0
	v_fma_f64 v[22:23], v[22:23], v[24:25], v[22:23]
	v_div_scale_f64 v[24:25], vcc_lo, v[12:13], v[16:17], v[12:13]
	v_mul_f64 v[26:27], v[24:25], v[22:23]
	v_fma_f64 v[20:21], -v[20:21], v[26:27], v[24:25]
	v_div_fmas_f64 v[20:21], v[20:21], v[22:23], v[26:27]
	v_div_fixup_f64 v[26:27], v[20:21], v[16:17], v[12:13]
.LBB0_61:
	s_or_b32 exec_lo, exec_lo, s1
	s_clause 0x1
	buffer_load_dword v4, off, s[56:59], 0 offset:336
	buffer_load_dword v5, off, s[56:59], 0 offset:340
	v_mul_f64 v[16:17], v[114:115], v[114:115]
	s_mov_b32 s0, 0xe2308c3a
	s_mov_b32 s1, 0x3e45798e
	v_add_f64 v[34:35], v[42:43], v[26:27]
                                        ; implicit-def: $vgpr38_vgpr39
	s_waitcnt vmcnt(0)
	v_mul_f64 v[24:25], v[4:5], v[4:5]
	v_div_scale_f64 v[12:13], null, v[16:17], v[16:17], v[24:25]
	v_div_scale_f64 v[28:29], vcc_lo, v[24:25], v[16:17], v[24:25]
	v_rcp_f64_e32 v[20:21], v[12:13]
	v_fma_f64 v[22:23], -v[12:13], v[20:21], 1.0
	v_fma_f64 v[20:21], v[20:21], v[22:23], v[20:21]
	v_fma_f64 v[22:23], -v[12:13], v[20:21], 1.0
	v_fma_f64 v[20:21], v[20:21], v[22:23], v[20:21]
	v_mul_f64 v[22:23], v[28:29], v[20:21]
	v_fma_f64 v[12:13], -v[12:13], v[22:23], v[28:29]
	v_div_fmas_f64 v[12:13], v[12:13], v[20:21], v[22:23]
	s_clause 0x3
	buffer_load_dword v4, off, s[56:59], 0 offset:328
	buffer_load_dword v5, off, s[56:59], 0 offset:332
	;; [unrolled: 1-line block ×4, first 2 shown]
	v_div_fixup_f64 v[12:13], v[12:13], v[16:17], v[24:25]
	v_add_f64 v[32:33], v[12:13], 1.0
	s_waitcnt vmcnt(0)
	v_add_f64 v[28:29], v[4:5], -v[20:21]
	v_div_scale_f64 v[12:13], null, v[32:33], v[32:33], v[28:29]
	v_div_scale_f64 v[30:31], vcc_lo, v[28:29], v[32:33], v[28:29]
	v_rcp_f64_e32 v[20:21], v[12:13]
	v_fma_f64 v[22:23], -v[12:13], v[20:21], 1.0
	v_fma_f64 v[20:21], v[20:21], v[22:23], v[20:21]
	v_fma_f64 v[22:23], -v[12:13], v[20:21], 1.0
	v_fma_f64 v[20:21], v[20:21], v[22:23], v[20:21]
	v_mul_f64 v[22:23], v[30:31], v[20:21]
	v_fma_f64 v[12:13], -v[12:13], v[22:23], v[30:31]
	v_add_f64 v[30:31], -v[112:113], 1.0
	v_div_fmas_f64 v[12:13], v[12:13], v[20:21], v[22:23]
	v_mul_f64 v[20:21], v[112:113], v[58:59]
	v_div_fixup_f64 v[12:13], v[12:13], v[32:33], v[28:29]
	v_add_f64 v[12:13], v[4:5], -v[12:13]
	s_clause 0x1
	buffer_load_dword v4, off, s[56:59], 0 offset:320
	buffer_load_dword v5, off, s[56:59], 0 offset:324
	s_waitcnt vmcnt(0)
	v_mul_f64 v[22:23], v[4:5], v[12:13]
	s_clause 0x1
	buffer_load_dword v4, off, s[56:59], 0 offset:128
	buffer_load_dword v5, off, s[56:59], 0 offset:132
	global_store_dwordx2 v[126:127], v[34:35], off
	v_mul_f64 v[20:21], v[20:21], v[22:23]
	s_waitcnt vmcnt(0)
	v_fma_f64 v[22:23], -v[58:59], v[22:23], -v[4:5]
	v_fma_f64 v[26:27], v[30:31], v[4:5], -v[20:21]
	v_cmp_ngt_f64_e64 s0, |v[22:23]|, s[0:1]
	s_and_saveexec_b32 s1, s0
	s_xor_b32 s0, exec_lo, s1
; %bb.62:
	v_mul_f64 v[38:39], s[12:13], v[26:27]
                                        ; implicit-def: $vgpr22_vgpr23
                                        ; implicit-def: $vgpr26_vgpr27
; %bb.63:
	s_or_saveexec_b32 s1, s0
	v_mul_f64 v[8:9], v[8:9], v[70:71]
	s_xor_b32 exec_lo, exec_lo, s1
	s_cbranch_execz .LBB0_65
; %bb.64:
	v_mul_f64 v[20:21], s[12:13], v[22:23]
	s_mov_b32 s2, 0x652b82fe
	s_mov_b32 s3, 0x3ff71547
	;; [unrolled: 1-line block ×4, first 2 shown]
	v_mul_f64 v[30:31], v[20:21], s[2:3]
	s_mov_b32 s2, 0xfefa39ef
	s_mov_b32 s3, 0xbfe62e42
	v_cmp_nlt_f64_e32 vcc_lo, 0x40900000, v[20:21]
	v_cmp_ngt_f64_e64 s0, 0xc090cc00, v[20:21]
	v_rndne_f64_e32 v[30:31], v[30:31]
	v_fma_f64 v[34:35], v[30:31], s[2:3], v[20:21]
	s_mov_b32 s2, 0x3b39803f
	s_mov_b32 s3, 0xbc7abc9e
	v_cvt_i32_f64_e32 v44, v[30:31]
	v_fma_f64 v[34:35], v[30:31], s[2:3], v[34:35]
	s_mov_b32 s2, 0xfca7ab0c
	s_mov_b32 s3, 0x3e928af3
	v_fma_f64 v[38:39], v[34:35], s[4:5], s[2:3]
	s_mov_b32 s2, 0x623fde64
	s_mov_b32 s3, 0x3ec71dee
	;; [unrolled: 3-line block ×9, first 2 shown]
	v_fma_f64 v[38:39], v[34:35], v[38:39], s[2:3]
	v_fma_f64 v[38:39], v[34:35], v[38:39], 1.0
	v_fma_f64 v[30:31], v[34:35], v[38:39], 1.0
	v_ldexp_f64 v[30:31], v[30:31], v44
	v_add_f64 v[30:31], v[30:31], -1.0
	v_cndmask_b32_e32 v31, 0x7ff00000, v31, vcc_lo
	s_and_b32 vcc_lo, s0, vcc_lo
	v_cndmask_b32_e32 v20, 0, v30, vcc_lo
	v_cndmask_b32_e64 v21, 0xbff00000, v31, s0
	v_mul_f64 v[20:21], v[26:27], v[20:21]
	v_div_scale_f64 v[26:27], null, v[22:23], v[22:23], v[20:21]
	v_rcp_f64_e32 v[30:31], v[26:27]
	v_fma_f64 v[34:35], -v[26:27], v[30:31], 1.0
	v_fma_f64 v[30:31], v[30:31], v[34:35], v[30:31]
	v_fma_f64 v[34:35], -v[26:27], v[30:31], 1.0
	v_fma_f64 v[30:31], v[30:31], v[34:35], v[30:31]
	v_div_scale_f64 v[34:35], vcc_lo, v[20:21], v[22:23], v[20:21]
	v_mul_f64 v[38:39], v[34:35], v[30:31]
	v_fma_f64 v[26:27], -v[26:27], v[38:39], v[34:35]
	v_div_fmas_f64 v[26:27], v[26:27], v[30:31], v[38:39]
	v_div_fixup_f64 v[38:39], v[26:27], v[22:23], v[20:21]
.LBB0_65:
	s_or_b32 exec_lo, exec_lo, s1
	s_clause 0x1
	buffer_load_dword v4, off, s[56:59], 0 offset:120
	buffer_load_dword v5, off, s[56:59], 0 offset:124
	v_div_scale_f64 v[20:21], null, v[12:13], v[12:13], v[122:123]
	v_mul_f64 v[16:17], v[114:115], v[16:17]
	s_mov_b32 s1, 0x3fe55555
	s_mov_b32 s0, 0x55555555
	;; [unrolled: 1-line block ×6, first 2 shown]
	v_rcp_f64_e32 v[22:23], v[20:21]
	v_fma_f64 v[26:27], -v[20:21], v[22:23], 1.0
	v_fma_f64 v[22:23], v[22:23], v[26:27], v[22:23]
	v_fma_f64 v[26:27], -v[20:21], v[22:23], 1.0
	v_fma_f64 v[22:23], v[22:23], v[26:27], v[22:23]
	v_div_scale_f64 v[26:27], vcc_lo, v[122:123], v[12:13], v[122:123]
	v_mul_f64 v[30:31], v[26:27], v[22:23]
	v_fma_f64 v[20:21], -v[20:21], v[30:31], v[26:27]
	v_div_fmas_f64 v[20:21], v[20:21], v[22:23], v[30:31]
	v_div_fixup_f64 v[74:75], v[20:21], v[12:13], v[122:123]
	v_mul_f64 v[20:21], v[112:113], v[124:125]
	v_mul_f64 v[22:23], v[20:21], v[74:75]
	s_waitcnt vmcnt(0)
	v_fma_f64 v[30:31], v[124:125], v[74:75], v[4:5]
	s_clause 0x1
	buffer_load_dword v4, off, s[56:59], 0 offset:112
	buffer_load_dword v5, off, s[56:59], 0 offset:116
	v_div_scale_f64 v[26:27], null, v[30:31], v[30:31], v[22:23]
	v_rcp_f64_e32 v[34:35], v[26:27]
	v_fma_f64 v[44:45], -v[26:27], v[34:35], 1.0
	v_fma_f64 v[34:35], v[34:35], v[44:45], v[34:35]
	v_fma_f64 v[44:45], -v[26:27], v[34:35], 1.0
	v_fma_f64 v[34:35], v[34:35], v[44:45], v[34:35]
	v_div_scale_f64 v[44:45], vcc_lo, v[22:23], v[30:31], v[22:23]
	v_mul_f64 v[46:47], v[44:45], v[34:35]
	v_fma_f64 v[26:27], -v[26:27], v[46:47], v[44:45]
	v_div_fmas_f64 v[26:27], v[26:27], v[34:35], v[46:47]
	v_add_f64 v[46:47], v[114:115], v[50:51]
	v_div_fixup_f64 v[34:35], v[26:27], v[30:31], v[22:23]
	v_mul_f64 v[48:49], v[46:47], v[46:47]
	s_waitcnt vmcnt(0)
	v_mul_f64 v[22:23], v[4:5], v[50:51]
	v_div_scale_f64 v[26:27], null, v[48:49], v[48:49], v[22:23]
	v_rcp_f64_e32 v[44:45], v[26:27]
	v_fma_f64 v[64:65], -v[26:27], v[44:45], 1.0
	v_fma_f64 v[44:45], v[44:45], v[64:65], v[44:45]
	v_fma_f64 v[64:65], -v[26:27], v[44:45], 1.0
	v_fma_f64 v[44:45], v[44:45], v[64:65], v[44:45]
	v_div_scale_f64 v[64:65], vcc_lo, v[22:23], v[48:49], v[22:23]
	v_mul_f64 v[66:67], v[64:65], v[44:45]
	v_fma_f64 v[26:27], -v[26:27], v[66:67], v[64:65]
	v_div_fmas_f64 v[26:27], v[26:27], v[44:45], v[66:67]
	v_div_fixup_f64 v[22:23], v[26:27], v[48:49], v[22:23]
	v_add_f64 v[72:73], v[22:23], 1.0
	v_div_scale_f64 v[22:23], null, v[72:73], v[72:73], 1.0
	v_rcp_f64_e32 v[26:27], v[22:23]
	v_fma_f64 v[44:45], -v[22:23], v[26:27], 1.0
	v_fma_f64 v[26:27], v[26:27], v[44:45], v[26:27]
	v_fma_f64 v[44:45], -v[22:23], v[26:27], 1.0
	v_fma_f64 v[26:27], v[26:27], v[44:45], v[26:27]
	v_div_scale_f64 v[44:45], vcc_lo, 1.0, v[72:73], 1.0
	v_mul_f64 v[64:65], v[44:45], v[26:27]
	v_fma_f64 v[22:23], -v[22:23], v[64:65], v[44:45]
	v_div_fmas_f64 v[22:23], v[22:23], v[26:27], v[64:65]
	v_div_fixup_f64 v[44:45], v[22:23], v[72:73], 1.0
	v_add_f64 v[22:23], v[112:113], v[38:39]
	global_store_dwordx2 v[120:121], v[22:23], off
	s_clause 0x1
	buffer_load_dword v40, off, s[56:59], 0 offset:376
	buffer_load_dword v41, off, s[56:59], 0 offset:380
	v_add_f64 v[22:23], v[114:115], -v[58:59]
	s_waitcnt vmcnt(0)
	v_mul_f64 v[26:27], v[22:23], v[40:41]
	v_fma_f64 v[8:9], -v[26:27], v[34:35], -v[8:9]
	v_add_f64 v[64:65], v[6:7], v[8:9]
	v_mul_f64 v[6:7], v[24:25], -2.0
	v_mul_f64 v[8:9], v[32:33], v[32:33]
	v_mul_f64 v[22:23], v[44:45], v[64:65]
	;; [unrolled: 1-line block ×4, first 2 shown]
	v_div_scale_f64 v[16:17], null, v[8:9], v[8:9], v[6:7]
	v_rcp_f64_e32 v[24:25], v[16:17]
	v_fma_f64 v[28:29], -v[16:17], v[24:25], 1.0
	v_fma_f64 v[24:25], v[24:25], v[28:29], v[24:25]
	v_fma_f64 v[28:29], -v[16:17], v[24:25], 1.0
	v_fma_f64 v[24:25], v[24:25], v[28:29], v[24:25]
	v_div_scale_f64 v[28:29], vcc_lo, v[6:7], v[8:9], v[6:7]
	v_mul_f64 v[32:33], v[28:29], v[24:25]
	v_fma_f64 v[16:17], -v[16:17], v[32:33], v[28:29]
	v_div_fmas_f64 v[16:17], v[16:17], v[24:25], v[32:33]
	v_div_fixup_f64 v[66:67], v[16:17], v[8:9], v[6:7]
	v_add_f64 v[6:7], v[4:5], v[4:5]
	v_mul_f64 v[8:9], v[72:73], v[72:73]
	v_mul_f64 v[16:17], v[46:47], v[48:49]
	v_mul_f64 v[6:7], v[6:7], v[50:51]
	v_mul_f64 v[8:9], v[16:17], v[8:9]
	v_div_scale_f64 v[16:17], null, v[8:9], v[8:9], v[6:7]
	v_rcp_f64_e32 v[24:25], v[16:17]
	v_fma_f64 v[28:29], -v[16:17], v[24:25], 1.0
	v_fma_f64 v[24:25], v[24:25], v[28:29], v[24:25]
	v_fma_f64 v[28:29], -v[16:17], v[24:25], 1.0
	v_fma_f64 v[24:25], v[24:25], v[28:29], v[24:25]
	v_div_scale_f64 v[28:29], vcc_lo, v[6:7], v[8:9], v[6:7]
	v_mul_f64 v[32:33], v[28:29], v[24:25]
	v_fma_f64 v[16:17], -v[16:17], v[32:33], v[28:29]
	v_div_fmas_f64 v[16:17], v[16:17], v[24:25], v[32:33]
	v_div_fixup_f64 v[120:121], v[16:17], v[8:9], v[6:7]
	v_mul_f64 v[6:7], v[12:13], v[12:13]
	v_div_scale_f64 v[8:9], null, v[6:7], v[6:7], -v[122:123]
	v_rcp_f64_e32 v[12:13], v[8:9]
	v_fma_f64 v[16:17], -v[8:9], v[12:13], 1.0
	v_fma_f64 v[12:13], v[12:13], v[16:17], v[12:13]
	v_fma_f64 v[16:17], -v[8:9], v[12:13], 1.0
	v_fma_f64 v[12:13], v[12:13], v[16:17], v[12:13]
	v_div_scale_f64 v[16:17], vcc_lo, -v[122:123], v[6:7], -v[122:123]
	v_mul_f64 v[24:25], v[16:17], v[12:13]
	v_fma_f64 v[8:9], -v[8:9], v[24:25], v[16:17]
	v_div_fmas_f64 v[8:9], v[8:9], v[12:13], v[24:25]
	v_div_fixup_f64 v[122:123], v[8:9], v[6:7], -v[122:123]
	v_div_scale_f64 v[6:7], null, v[30:31], v[30:31], v[20:21]
	v_rcp_f64_e32 v[8:9], v[6:7]
	v_fma_f64 v[12:13], -v[6:7], v[8:9], 1.0
	v_fma_f64 v[8:9], v[8:9], v[12:13], v[8:9]
	v_fma_f64 v[12:13], -v[6:7], v[8:9], 1.0
	v_fma_f64 v[8:9], v[8:9], v[12:13], v[8:9]
	v_div_scale_f64 v[12:13], vcc_lo, v[20:21], v[30:31], v[20:21]
	v_mul_f64 v[16:17], v[12:13], v[8:9]
	v_fma_f64 v[6:7], -v[6:7], v[16:17], v[12:13]
	v_frexp_exp_i32_f64_e32 v12, v[58:59]
	v_div_fmas_f64 v[6:7], v[6:7], v[8:9], v[16:17]
	v_cmp_eq_f64_e32 vcc_lo, 1.0, v[58:59]
	v_frexp_mant_f64_e64 v[8:9], |v[58:59]|
	v_div_fixup_f64 v[126:127], v[6:7], v[30:31], v[20:21]
	v_mov_b32_e32 v6, 0x3ff00000
	v_cndmask_b32_e32 v7, 0x40100000, v6, vcc_lo
	v_cmp_gt_f64_e32 vcc_lo, s[0:1], v[8:9]
	v_mov_b32_e32 v6, 0
	v_cndmask_b32_e64 v13, 0, 1, vcc_lo
	v_subrev_co_ci_u32_e64 v38, null, 0, v12, vcc_lo
	v_ldexp_f64 v[8:9], v[8:9], v13
	v_add_f64 v[16:17], v[8:9], 1.0
	v_add_f64 v[12:13], v[8:9], -1.0
	v_add_f64 v[20:21], v[16:17], -1.0
	v_add_f64 v[8:9], v[8:9], -v[20:21]
	v_rcp_f64_e32 v[20:21], v[16:17]
	v_fma_f64 v[24:25], -v[16:17], v[20:21], 1.0
	v_fma_f64 v[20:21], v[24:25], v[20:21], v[20:21]
	v_fma_f64 v[24:25], -v[16:17], v[20:21], 1.0
	v_fma_f64 v[20:21], v[24:25], v[20:21], v[20:21]
	v_mul_f64 v[24:25], v[12:13], v[20:21]
	v_mul_f64 v[28:29], v[16:17], v[24:25]
	v_fma_f64 v[16:17], v[24:25], v[16:17], -v[28:29]
	v_fma_f64 v[8:9], v[24:25], v[8:9], v[16:17]
	v_add_f64 v[16:17], v[28:29], v[8:9]
	v_add_f64 v[32:33], v[12:13], -v[16:17]
	v_add_f64 v[28:29], v[16:17], -v[28:29]
	;; [unrolled: 1-line block ×4, first 2 shown]
	v_cvt_f64_i32_e32 v[28:29], v38
	v_add_f64 v[12:13], v[12:13], -v[16:17]
	v_add_f64 v[8:9], v[8:9], v[12:13]
	v_add_f64 v[8:9], v[32:33], v[8:9]
	v_mul_f64 v[8:9], v[20:21], v[8:9]
	v_add_f64 v[12:13], v[24:25], v[8:9]
	v_add_f64 v[16:17], v[12:13], -v[24:25]
	v_add_f64 v[8:9], v[8:9], -v[16:17]
	v_mul_f64 v[16:17], v[12:13], v[12:13]
	v_add_f64 v[24:25], v[8:9], v[8:9]
	v_fma_f64 v[20:21], v[12:13], v[12:13], -v[16:17]
	v_ldexp_f64 v[46:47], v[8:9], 1
	v_fma_f64 v[20:21], v[12:13], v[24:25], v[20:21]
	v_add_f64 v[24:25], v[16:17], v[20:21]
	v_add_f64 v[16:17], v[24:25], -v[16:17]
	v_mul_f64 v[48:49], v[12:13], v[24:25]
	v_add_f64 v[16:17], v[20:21], -v[16:17]
	v_fma_f64 v[20:21], v[24:25], s[4:5], s[2:3]
	s_mov_b32 s2, 0x3abe935a
	s_mov_b32 s3, 0x3fbe25e4
	;; [unrolled: 1-line block ×4, first 2 shown]
	v_fma_f64 v[62:63], v[24:25], v[12:13], -v[48:49]
	v_fma_f64 v[20:21], v[24:25], v[20:21], s[2:3]
	s_mov_b32 s2, 0x47e6c9c2
	s_mov_b32 s3, 0x3fc110ef
	v_fma_f64 v[8:9], v[24:25], v[8:9], v[62:63]
	v_fma_f64 v[20:21], v[24:25], v[20:21], s[2:3]
	s_mov_b32 s2, 0xcfa74449
	s_mov_b32 s3, 0x3fc3b13b
	v_fma_f64 v[8:9], v[16:17], v[12:13], v[8:9]
	;; [unrolled: 4-line block ×3, first 2 shown]
	s_mov_b32 s2, 0x1c7792ce
	s_mov_b32 s3, 0x3fcc71c7
	v_fma_f64 v[20:21], v[24:25], v[20:21], s[2:3]
	s_mov_b32 s2, 0x924920da
	s_mov_b32 s3, 0x3fd24924
	v_fma_f64 v[20:21], v[24:25], v[20:21], s[2:3]
	;; [unrolled: 3-line block ×3, first 2 shown]
	s_mov_b32 s3, 0x3fe62e42
	s_mov_b32 s2, 0xfefa39ef
	v_mul_f64 v[32:33], v[28:29], s[2:3]
	v_fma_f64 v[38:39], v[28:29], s[2:3], -v[32:33]
	s_mov_b32 s3, 0xbfe62e42
	v_fma_f64 v[28:29], v[28:29], s[4:5], v[38:39]
	s_mov_b32 s5, 0xbc7abc9e
	v_add_f64 v[38:39], v[32:33], v[28:29]
	v_add_f64 v[32:33], v[38:39], -v[32:33]
	v_add_f64 v[28:29], v[28:29], -v[32:33]
	v_ldexp_f64 v[32:33], v[12:13], 1
	v_add_f64 v[12:13], v[48:49], v[8:9]
	v_add_f64 v[48:49], v[12:13], -v[48:49]
	v_add_f64 v[8:9], v[8:9], -v[48:49]
	v_mul_f64 v[48:49], v[24:25], v[20:21]
	v_fma_f64 v[24:25], v[24:25], v[20:21], -v[48:49]
	v_fma_f64 v[16:17], v[16:17], v[20:21], v[24:25]
	v_add_f64 v[20:21], v[48:49], v[16:17]
	v_add_f64 v[24:25], v[20:21], -v[48:49]
	v_add_f64 v[16:17], v[16:17], -v[24:25]
	v_add_f64 v[24:25], v[20:21], s[0:1]
	s_mov_b32 s1, 0xbfe55555
	v_add_f64 v[48:49], v[24:25], s[0:1]
	s_mov_b32 s0, 0xd5df274d
	s_mov_b32 s1, 0x3c8543b0
	v_add_f64 v[16:17], v[16:17], s[0:1]
	s_mov_b32 s0, 0x652b82fe
	s_mov_b32 s1, 0x3ff71547
	v_add_f64 v[20:21], v[20:21], -v[48:49]
	v_add_f64 v[16:17], v[16:17], v[20:21]
	v_add_f64 v[20:21], v[24:25], v[16:17]
	v_add_f64 v[24:25], v[24:25], -v[20:21]
	v_add_f64 v[16:17], v[16:17], v[24:25]
	v_mul_f64 v[24:25], v[12:13], v[20:21]
	v_fma_f64 v[48:49], v[12:13], v[20:21], -v[24:25]
	v_fma_f64 v[12:13], v[12:13], v[16:17], v[48:49]
	v_fma_f64 v[8:9], v[8:9], v[20:21], v[12:13]
	v_add_f64 v[12:13], v[24:25], v[8:9]
	v_add_f64 v[16:17], v[12:13], -v[24:25]
	v_add_f64 v[8:9], v[8:9], -v[16:17]
	v_add_f64 v[16:17], v[32:33], v[12:13]
	v_add_f64 v[8:9], v[46:47], v[8:9]
	v_add_f64 v[20:21], v[16:17], -v[32:33]
                                        ; implicit-def: $vgpr46_vgpr47
	v_add_f64 v[12:13], v[12:13], -v[20:21]
	v_add_f64 v[8:9], v[8:9], v[12:13]
	v_add_f64 v[12:13], v[16:17], v[8:9]
	v_add_f64 v[16:17], v[12:13], -v[16:17]
	v_add_f64 v[8:9], v[8:9], -v[16:17]
	v_add_f64 v[16:17], v[38:39], v[12:13]
	v_add_f64 v[20:21], v[16:17], -v[38:39]
	v_add_f64 v[24:25], v[16:17], -v[20:21]
	;; [unrolled: 1-line block ×3, first 2 shown]
	v_add_f64 v[20:21], v[28:29], v[8:9]
	v_add_f64 v[24:25], v[38:39], -v[24:25]
	v_add_f64 v[12:13], v[12:13], v[24:25]
	v_add_f64 v[24:25], v[20:21], -v[28:29]
	;; [unrolled: 2-line block ×3, first 2 shown]
	v_add_f64 v[8:9], v[8:9], -v[24:25]
	v_add_f64 v[20:21], v[16:17], v[12:13]
	v_add_f64 v[28:29], v[28:29], -v[32:33]
	v_add_f64 v[16:17], v[20:21], -v[16:17]
	v_add_f64 v[8:9], v[8:9], v[28:29]
	v_add_f64 v[12:13], v[12:13], -v[16:17]
	v_add_f64 v[8:9], v[8:9], v[12:13]
	v_add_f64 v[12:13], v[20:21], v[8:9]
	v_add_f64 v[16:17], v[12:13], -v[20:21]
	v_add_f64 v[8:9], v[8:9], -v[16:17]
	v_mul_f64 v[16:17], v[6:7], v[12:13]
	v_fma_f64 v[12:13], v[6:7], v[12:13], -v[16:17]
	v_cmp_class_f64_e64 vcc_lo, v[16:17], 0x204
	v_fma_f64 v[8:9], v[6:7], v[8:9], v[12:13]
	v_add_f64 v[12:13], v[16:17], v[8:9]
	v_add_f64 v[20:21], v[12:13], -v[16:17]
	v_cndmask_b32_e32 v13, v13, v17, vcc_lo
	v_cndmask_b32_e32 v12, v12, v16, vcc_lo
	v_mul_f64 v[16:17], v[12:13], s[0:1]
	s_mov_b32 s0, 0xfca7ab0c
	s_mov_b32 s1, 0x3e928af3
	v_cmp_neq_f64_e64 vcc_lo, 0x7ff00000, |v[12:13]|
	v_add_f64 v[8:9], v[8:9], -v[20:21]
	v_rndne_f64_e32 v[16:17], v[16:17]
	v_cndmask_b32_e32 v9, 0, v9, vcc_lo
	v_cndmask_b32_e32 v8, 0, v8, vcc_lo
	v_cmp_nlt_f64_e32 vcc_lo, 0x40900000, v[12:13]
	v_fma_f64 v[20:21], v[16:17], s[2:3], v[12:13]
	s_mov_b32 s2, 0x6a5dcb37
	s_mov_b32 s3, 0x3e5ade15
	v_fma_f64 v[20:21], v[16:17], s[4:5], v[20:21]
	v_cvt_i32_f64_e32 v16, v[16:17]
	v_fma_f64 v[24:25], v[20:21], s[2:3], s[0:1]
	s_mov_b32 s0, 0x623fde64
	s_mov_b32 s1, 0x3ec71dee
	v_fma_f64 v[24:25], v[20:21], v[24:25], s[0:1]
	s_mov_b32 s0, 0x7c89e6b0
	s_mov_b32 s1, 0x3efa0199
	;; [unrolled: 3-line block ×8, first 2 shown]
	v_fma_f64 v[24:25], v[20:21], v[24:25], s[0:1]
	v_cmp_ngt_f64_e64 s0, 0xc090cc00, v[12:13]
	v_cmp_gt_f64_e64 s1, 0, v[58:59]
	v_fma_f64 v[24:25], v[20:21], v[24:25], 1.0
	v_fma_f64 v[20:21], v[20:21], v[24:25], 1.0
	v_ldexp_f64 v[16:17], v[20:21], v16
	v_cndmask_b32_e32 v17, 0x7ff00000, v17, vcc_lo
	s_and_b32 vcc_lo, s0, vcc_lo
	v_cndmask_b32_e32 v12, 0, v16, vcc_lo
	v_cndmask_b32_e64 v13, 0, v17, s0
	v_fma_f64 v[8:9], v[12:13], v[8:9], v[12:13]
	v_cmp_class_f64_e64 vcc_lo, v[12:13], 0x204
	v_cndmask_b32_e32 v8, v8, v12, vcc_lo
	v_cndmask_b32_e32 v9, v9, v13, vcc_lo
	v_trunc_f64_e32 v[12:13], v[6:7]
	v_cmp_eq_f64_e32 vcc_lo, v[12:13], v[6:7]
	v_mul_f64 v[6:7], v[6:7], 0.5
	v_trunc_f64_e32 v[12:13], v[6:7]
	v_cmp_neq_f64_e64 s0, v[12:13], v[6:7]
	s_and_b32 s0, vcc_lo, s0
	v_cndmask_b32_e64 v6, 0x3ff00000, v59, s0
	v_bfi_b32 v7, 0x7fffffff, v9, v6
	v_cndmask_b32_e32 v6, 0, v8, vcc_lo
	v_cndmask_b32_e32 v9, 0x7ff80000, v7, vcc_lo
	v_cndmask_b32_e64 v6, v8, v6, s1
	v_cmp_eq_f64_e32 vcc_lo, 0, v[58:59]
	v_cndmask_b32_e64 v7, v7, v9, s1
	v_cmp_class_f64_e64 s1, v[58:59], 0x204
	v_cndmask_b32_e64 v9, 0, v59, s0
	v_cndmask_b32_e64 v8, 0x7ff00000, 0, vcc_lo
	s_or_b32 s1, vcc_lo, s1
	v_cmp_o_f64_e32 vcc_lo, v[58:59], v[58:59]
	v_bfi_b32 v8, 0x7fffffff, v8, v9
	v_cndmask_b32_e64 v6, v6, 0, s1
	v_cndmask_b32_e64 v7, v7, v8, s1
	v_mul_f64 v[8:9], v[30:31], v[30:31]
	s_mov_b32 s0, 0xe2308c3a
	s_mov_b32 s1, 0x3e45798e
	v_cndmask_b32_e32 v6, 0, v6, vcc_lo
	v_cndmask_b32_e32 v7, 0x7ff80000, v7, vcc_lo
	v_mul_f64 v[6:7], v[112:113], v[6:7]
	v_mul_f64 v[6:7], v[74:75], v[6:7]
	v_div_scale_f64 v[12:13], null, v[8:9], v[8:9], v[6:7]
	v_rcp_f64_e32 v[16:17], v[12:13]
	v_fma_f64 v[20:21], -v[12:13], v[16:17], 1.0
	v_fma_f64 v[16:17], v[16:17], v[20:21], v[16:17]
	v_fma_f64 v[20:21], -v[12:13], v[16:17], 1.0
	v_fma_f64 v[16:17], v[16:17], v[20:21], v[16:17]
	v_div_scale_f64 v[20:21], vcc_lo, v[6:7], v[8:9], v[6:7]
	v_mul_f64 v[24:25], v[20:21], v[16:17]
	v_fma_f64 v[12:13], -v[12:13], v[24:25], v[20:21]
	v_div_fmas_f64 v[12:13], v[12:13], v[16:17], v[24:25]
	v_div_fixup_f64 v[6:7], v[12:13], v[8:9], v[6:7]
	v_mul_f64 v[12:13], v[40:41], v[34:35]
	v_add_f64 v[6:7], v[126:127], -v[6:7]
	v_mul_f64 v[6:7], v[26:27], v[6:7]
	v_mul_f64 v[6:7], v[122:123], v[6:7]
	v_fma_f64 v[16:17], v[66:67], v[6:7], v[12:13]
	v_add_f64 v[16:17], -v[70:71], -v[16:17]
	v_fma_f64 v[6:7], -v[66:67], v[6:7], v[16:17]
	v_mul_f64 v[6:7], v[44:45], v[6:7]
	v_fma_f64 v[6:7], v[120:121], v[64:65], v[6:7]
	v_cmp_ngt_f64_e64 s0, |v[6:7]|, s[0:1]
	s_and_saveexec_b32 s1, s0
	s_xor_b32 s0, exec_lo, s1
; %bb.66:
	v_mul_f64 v[46:47], s[12:13], v[22:23]
                                        ; implicit-def: $vgpr6_vgpr7
                                        ; implicit-def: $vgpr22_vgpr23
; %bb.67:
	s_or_saveexec_b32 s1, s0
	v_mul_f64 v[24:25], v[94:95], v[102:103]
	v_mul_f64 v[32:33], v[26:27], v[34:35]
	v_mov_b32_e32 v50, v116
	v_mov_b32_e32 v51, v117
	buffer_store_dword v110, off, s[56:59], 0 offset:120 ; 4-byte Folded Spill
	buffer_store_dword v111, off, s[56:59], 0 offset:124 ; 4-byte Folded Spill
	;; [unrolled: 1-line block ×6, first 2 shown]
	s_xor_b32 exec_lo, exec_lo, s1
	s_cbranch_execz .LBB0_69
; %bb.68:
	v_mul_f64 v[16:17], s[12:13], v[6:7]
	s_mov_b32 s2, 0x652b82fe
	s_mov_b32 s3, 0x3ff71547
	;; [unrolled: 1-line block ×4, first 2 shown]
	v_mul_f64 v[20:21], v[16:17], s[2:3]
	s_mov_b32 s2, 0xfefa39ef
	s_mov_b32 s3, 0xbfe62e42
	v_cmp_nlt_f64_e32 vcc_lo, 0x40900000, v[16:17]
	v_cmp_ngt_f64_e64 s0, 0xc090cc00, v[16:17]
	v_rndne_f64_e32 v[20:21], v[20:21]
	v_fma_f64 v[28:29], v[20:21], s[2:3], v[16:17]
	s_mov_b32 s2, 0x3b39803f
	s_mov_b32 s3, 0xbc7abc9e
	v_cvt_i32_f64_e32 v38, v[20:21]
	v_fma_f64 v[28:29], v[20:21], s[2:3], v[28:29]
	s_mov_b32 s2, 0xfca7ab0c
	s_mov_b32 s3, 0x3e928af3
	v_fma_f64 v[34:35], v[28:29], s[4:5], s[2:3]
	s_mov_b32 s2, 0x623fde64
	s_mov_b32 s3, 0x3ec71dee
	;; [unrolled: 3-line block ×9, first 2 shown]
	v_fma_f64 v[34:35], v[28:29], v[34:35], s[2:3]
	v_fma_f64 v[34:35], v[28:29], v[34:35], 1.0
	v_fma_f64 v[20:21], v[28:29], v[34:35], 1.0
	v_ldexp_f64 v[20:21], v[20:21], v38
	v_add_f64 v[20:21], v[20:21], -1.0
	v_cndmask_b32_e32 v21, 0x7ff00000, v21, vcc_lo
	s_and_b32 vcc_lo, s0, vcc_lo
	v_cndmask_b32_e32 v16, 0, v20, vcc_lo
	v_cndmask_b32_e64 v17, 0xbff00000, v21, s0
	v_mul_f64 v[16:17], v[22:23], v[16:17]
	v_div_scale_f64 v[20:21], null, v[6:7], v[6:7], v[16:17]
	v_rcp_f64_e32 v[22:23], v[20:21]
	v_fma_f64 v[28:29], -v[20:21], v[22:23], 1.0
	v_fma_f64 v[22:23], v[22:23], v[28:29], v[22:23]
	v_fma_f64 v[28:29], -v[20:21], v[22:23], 1.0
	v_fma_f64 v[22:23], v[22:23], v[28:29], v[22:23]
	v_div_scale_f64 v[28:29], vcc_lo, v[16:17], v[6:7], v[16:17]
	v_mul_f64 v[34:35], v[28:29], v[22:23]
	v_fma_f64 v[20:21], -v[20:21], v[34:35], v[28:29]
	v_div_fmas_f64 v[20:21], v[20:21], v[22:23], v[34:35]
	v_div_fixup_f64 v[46:47], v[20:21], v[6:7], v[16:17]
.LBB0_69:
	s_or_b32 exec_lo, exec_lo, s1
	s_clause 0x1
	buffer_load_dword v86, off, s[56:59], 0 offset:312
	buffer_load_dword v87, off, s[56:59], 0 offset:316
	v_add_f64 v[16:17], v[58:59], v[60:61]
	s_mov_b32 s0, 0x47ae147b
	s_mov_b32 s1, 0x3f847ae1
	s_clause 0x1
	buffer_load_dword v84, off, s[56:59], 0 offset:136
	buffer_load_dword v85, off, s[56:59], 0 offset:140
	s_mov_b32 s2, 0x6a5dcb37
	s_mov_b32 s3, 0x3e5ade15
	s_clause 0x5
	buffer_load_dword v40, off, s[56:59], 0 offset:128
	buffer_load_dword v41, off, s[56:59], 0 offset:132
	;; [unrolled: 1-line block ×6, first 2 shown]
	v_ldexp_f64 v[48:49], v[58:59], -2
	s_clause 0x1
	buffer_load_dword v4, off, s[56:59], 0 offset:296
	buffer_load_dword v5, off, s[56:59], 0 offset:300
	v_mov_b32_e32 v57, v51
	v_mov_b32_e32 v56, v50
	v_mul_f64 v[24:25], v[24:25], v[92:93]
	v_mul_f64 v[28:29], v[16:17], v[16:17]
	v_mul_f64 v[16:17], v[16:17], v[28:29]
	s_waitcnt vmcnt(10)
	v_mul_f64 v[6:7], v[86:87], v[60:61]
	v_div_scale_f64 v[20:21], null, v[28:29], v[28:29], v[6:7]
	v_rcp_f64_e32 v[22:23], v[20:21]
	v_fma_f64 v[34:35], -v[20:21], v[22:23], 1.0
	v_fma_f64 v[22:23], v[22:23], v[34:35], v[22:23]
	v_fma_f64 v[34:35], -v[20:21], v[22:23], 1.0
	v_fma_f64 v[22:23], v[22:23], v[34:35], v[22:23]
	v_div_scale_f64 v[34:35], vcc_lo, v[6:7], v[28:29], v[6:7]
	v_mul_f64 v[38:39], v[34:35], v[22:23]
	v_fma_f64 v[20:21], -v[20:21], v[38:39], v[34:35]
	v_div_fmas_f64 v[20:21], v[20:21], v[22:23], v[38:39]
	v_div_fixup_f64 v[6:7], v[20:21], v[28:29], v[6:7]
	v_add_f64 v[38:39], v[6:7], 1.0
	v_div_scale_f64 v[6:7], null, v[38:39], v[38:39], 1.0
	v_rcp_f64_e32 v[20:21], v[6:7]
	v_fma_f64 v[22:23], -v[6:7], v[20:21], 1.0
	v_fma_f64 v[20:21], v[20:21], v[22:23], v[20:21]
	v_fma_f64 v[22:23], -v[6:7], v[20:21], 1.0
	v_fma_f64 v[20:21], v[20:21], v[22:23], v[20:21]
	v_div_scale_f64 v[22:23], vcc_lo, 1.0, v[38:39], 1.0
	v_mul_f64 v[34:35], v[22:23], v[20:21]
	v_fma_f64 v[6:7], -v[6:7], v[34:35], v[22:23]
	v_div_fmas_f64 v[6:7], v[6:7], v[20:21], v[34:35]
	v_add_f64 v[20:21], 0xc02e0000, v[2:3]
	v_mul_f64 v[34:35], v[18:19], v[18:19]
	v_div_fixup_f64 v[6:7], v[6:7], v[38:39], 1.0
	v_cmp_lt_f64_e64 s33, |v[20:21]|, s[0:1]
	s_mov_b32 s0, 0x652b82fe
	s_mov_b32 s1, 0x3ff71547
	v_cndmask_b32_e64 v23, v21, 0x3f847ae1, s33
	v_cndmask_b32_e64 v22, v20, 0x47ae147b, s33
	s_waitcnt vmcnt(8)
	v_mul_f64 v[20:21], v[84:85], 4.0
	v_mul_f64 v[44:45], v[22:23], v[10:11]
	v_mul_f64 v[20:21], v[20:21], v[34:35]
	v_div_scale_f64 v[62:63], null, v[68:69], v[68:69], v[44:45]
	v_rcp_f64_e32 v[64:65], v[62:63]
	v_fma_f64 v[66:67], -v[62:63], v[64:65], 1.0
	v_fma_f64 v[64:65], v[64:65], v[66:67], v[64:65]
	v_fma_f64 v[66:67], -v[62:63], v[64:65], 1.0
	v_fma_f64 v[64:65], v[64:65], v[66:67], v[64:65]
	v_div_scale_f64 v[66:67], vcc_lo, v[44:45], v[68:69], v[44:45]
	v_mul_f64 v[70:71], v[66:67], v[64:65]
	v_fma_f64 v[62:63], -v[62:63], v[70:71], v[66:67]
	v_div_fmas_f64 v[62:63], v[62:63], v[64:65], v[70:71]
	v_div_fixup_f64 v[44:45], v[62:63], v[68:69], v[44:45]
	v_mul_f64 v[62:63], v[44:45], s[0:1]
	s_mov_b32 s0, 0xfefa39ef
	s_mov_b32 s1, 0xbfe62e42
	v_cmp_nlt_f64_e32 vcc_lo, 0x40900000, v[44:45]
	v_rndne_f64_e32 v[62:63], v[62:63]
	v_fma_f64 v[64:65], v[62:63], s[0:1], v[44:45]
	s_mov_b32 s0, 0x3b39803f
	s_mov_b32 s1, 0xbc7abc9e
	v_fma_f64 v[64:65], v[62:63], s[0:1], v[64:65]
	s_mov_b32 s0, 0xfca7ab0c
	s_mov_b32 s1, 0x3e928af3
	v_cvt_i32_f64_e32 v62, v[62:63]
	v_fma_f64 v[66:67], v[64:65], s[2:3], s[0:1]
	s_mov_b32 s0, 0x623fde64
	s_mov_b32 s1, 0x3ec71dee
	v_fma_f64 v[66:67], v[64:65], v[66:67], s[0:1]
	s_mov_b32 s0, 0x7c89e6b0
	s_mov_b32 s1, 0x3efa0199
	;; [unrolled: 3-line block ×8, first 2 shown]
	v_fma_f64 v[66:67], v[64:65], v[66:67], s[0:1]
	v_cmp_ngt_f64_e64 s0, 0xc090cc00, v[44:45]
	v_fma_f64 v[66:67], v[64:65], v[66:67], 1.0
	v_fma_f64 v[64:65], v[64:65], v[66:67], 1.0
	v_ldexp_f64 v[62:63], v[64:65], v62
	v_cndmask_b32_e32 v63, 0x7ff00000, v63, vcc_lo
	s_and_b32 vcc_lo, s0, vcc_lo
	v_cndmask_b32_e32 v44, 0, v62, vcc_lo
	v_cndmask_b32_e64 v45, 0, v63, s0
	s_mov_b32 s0, 0xe2308c3a
	s_mov_b32 s1, 0x3e45798e
	v_fma_f64 v[66:67], v[48:49], v[44:45], -v[108:109]
	v_add_f64 v[64:65], v[44:45], -1.0
	v_mul_f64 v[116:117], v[20:21], v[66:67]
	v_mul_f64 v[94:95], v[68:69], v[64:65]
	;; [unrolled: 1-line block ×4, first 2 shown]
	s_waitcnt vmcnt(6)
	v_mul_f64 v[20:21], v[40:41], v[20:21]
	s_waitcnt vmcnt(4)
	v_mul_f64 v[20:21], v[54:55], v[20:21]
	;; [unrolled: 2-line block ×3, first 2 shown]
	v_div_scale_f64 v[48:49], null, v[94:95], v[94:95], v[20:21]
	v_rcp_f64_e32 v[62:63], v[48:49]
	v_fma_f64 v[70:71], -v[48:49], v[62:63], 1.0
	v_fma_f64 v[62:63], v[62:63], v[70:71], v[62:63]
	v_fma_f64 v[70:71], -v[48:49], v[62:63], 1.0
	v_fma_f64 v[62:63], v[62:63], v[70:71], v[62:63]
	v_div_scale_f64 v[70:71], vcc_lo, v[20:21], v[94:95], v[20:21]
	v_mul_f64 v[72:73], v[70:71], v[62:63]
	v_fma_f64 v[48:49], -v[48:49], v[72:73], v[70:71]
	v_div_fmas_f64 v[48:49], v[48:49], v[62:63], v[72:73]
	v_div_fixup_f64 v[120:121], v[48:49], v[94:95], v[20:21]
	v_add_f64 v[20:21], v[114:115], v[46:47]
	s_waitcnt vmcnt(0)
	global_store_dwordx2 v[4:5], v[20:21], off
	v_mul_f64 v[20:21], v[104:105], v[32:33]
	s_clause 0x1
	buffer_load_dword v4, off, s[56:59], 0
	buffer_load_dword v5, off, s[56:59], 0 offset:4
	v_div_scale_f64 v[32:33], null, v[100:101], v[100:101], v[20:21]
	v_rcp_f64_e32 v[46:47], v[32:33]
	v_fma_f64 v[48:49], -v[32:33], v[46:47], 1.0
	v_fma_f64 v[46:47], v[46:47], v[48:49], v[46:47]
	v_fma_f64 v[48:49], -v[32:33], v[46:47], 1.0
	v_fma_f64 v[46:47], v[46:47], v[48:49], v[46:47]
	v_div_scale_f64 v[48:49], vcc_lo, v[20:21], v[100:101], v[20:21]
	v_mul_f64 v[62:63], v[48:49], v[46:47]
	v_fma_f64 v[32:33], -v[32:33], v[62:63], v[48:49]
	v_div_fmas_f64 v[32:33], v[32:33], v[46:47], v[62:63]
	v_div_fixup_f64 v[20:21], v[32:33], v[100:101], v[20:21]
	v_div_scale_f64 v[32:33], null, v[100:101], v[100:101], v[24:25]
	v_rcp_f64_e32 v[46:47], v[32:33]
	v_fma_f64 v[48:49], -v[32:33], v[46:47], 1.0
	v_fma_f64 v[46:47], v[46:47], v[48:49], v[46:47]
	v_fma_f64 v[48:49], -v[32:33], v[46:47], 1.0
	v_fma_f64 v[46:47], v[46:47], v[48:49], v[46:47]
	v_div_scale_f64 v[48:49], vcc_lo, v[24:25], v[100:101], v[24:25]
	v_mul_f64 v[62:63], v[48:49], v[46:47]
	v_fma_f64 v[32:33], -v[32:33], v[62:63], v[48:49]
	v_div_fmas_f64 v[32:33], v[32:33], v[46:47], v[62:63]
	v_div_fixup_f64 v[24:25], v[32:33], v[100:101], v[24:25]
	s_waitcnt vmcnt(0)
	v_mul_f64 v[32:33], v[4:5], v[120:121]
	v_add_f64 v[20:21], v[20:21], -v[24:25]
	v_mul_f64 v[24:25], v[100:101], v[10:11]
	v_div_scale_f64 v[10:11], null, v[24:25], v[24:25], v[32:33]
	v_rcp_f64_e32 v[46:47], v[10:11]
	v_fma_f64 v[48:49], -v[10:11], v[46:47], 1.0
	v_fma_f64 v[46:47], v[46:47], v[48:49], v[46:47]
	v_fma_f64 v[48:49], -v[10:11], v[46:47], 1.0
	v_fma_f64 v[46:47], v[46:47], v[48:49], v[46:47]
	v_div_scale_f64 v[48:49], vcc_lo, v[32:33], v[24:25], v[32:33]
	v_mul_f64 v[62:63], v[48:49], v[46:47]
	v_fma_f64 v[10:11], -v[10:11], v[62:63], v[48:49]
	v_div_fmas_f64 v[10:11], v[10:11], v[46:47], v[62:63]
	v_mul_f64 v[46:47], v[74:75], v[74:75]
	v_div_fixup_f64 v[10:11], v[10:11], v[24:25], v[32:33]
	v_add_f64 v[32:33], v[20:21], -v[10:11]
	v_mul_f64 v[20:21], v[58:59], v[124:125]
	v_mul_f64 v[10:11], v[6:7], v[32:33]
	v_add_f64 v[20:21], v[20:21], v[20:21]
	v_mul_f64 v[20:21], v[20:21], v[46:47]
	v_mul_f64 v[20:21], v[112:113], v[20:21]
	v_div_scale_f64 v[46:47], null, v[8:9], v[8:9], v[20:21]
	v_rcp_f64_e32 v[48:49], v[46:47]
	v_fma_f64 v[62:63], -v[46:47], v[48:49], 1.0
	v_fma_f64 v[48:49], v[48:49], v[62:63], v[48:49]
	v_fma_f64 v[62:63], -v[46:47], v[48:49], 1.0
	v_fma_f64 v[48:49], v[48:49], v[62:63], v[48:49]
	v_div_scale_f64 v[62:63], vcc_lo, v[20:21], v[8:9], v[20:21]
	v_mul_f64 v[70:71], v[62:63], v[48:49]
	v_fma_f64 v[46:47], -v[46:47], v[70:71], v[62:63]
	v_div_fmas_f64 v[46:47], v[46:47], v[48:49], v[70:71]
	v_div_fixup_f64 v[8:9], v[46:47], v[8:9], v[20:21]
	v_add_f64 v[20:21], v[58:59], v[58:59]
	v_mul_f64 v[20:21], v[112:113], v[20:21]
	v_mul_f64 v[20:21], v[20:21], v[74:75]
	v_div_scale_f64 v[46:47], null, v[30:31], v[30:31], v[20:21]
	v_rcp_f64_e32 v[48:49], v[46:47]
	v_fma_f64 v[62:63], -v[46:47], v[48:49], 1.0
	v_fma_f64 v[48:49], v[48:49], v[62:63], v[48:49]
	v_fma_f64 v[62:63], -v[46:47], v[48:49], 1.0
	v_fma_f64 v[48:49], v[48:49], v[62:63], v[48:49]
	v_div_scale_f64 v[62:63], vcc_lo, v[20:21], v[30:31], v[20:21]
	v_mul_f64 v[70:71], v[62:63], v[48:49]
	v_fma_f64 v[46:47], -v[46:47], v[70:71], v[62:63]
	v_div_fmas_f64 v[46:47], v[46:47], v[48:49], v[70:71]
	v_div_fixup_f64 v[20:21], v[46:47], v[30:31], v[20:21]
	v_add_f64 v[20:21], v[20:21], -v[8:9]
	v_add_f64 v[8:9], v[86:87], v[86:87]
	v_fma_f64 v[30:31], v[26:27], v[20:21], -v[12:13]
	v_mul_f64 v[12:13], v[38:39], v[38:39]
	v_mul_f64 v[8:9], v[8:9], v[60:61]
                                        ; implicit-def: $vgpr60_vgpr61
	v_mul_f64 v[12:13], v[16:17], v[12:13]
	v_div_scale_f64 v[16:17], null, v[12:13], v[12:13], v[8:9]
	v_rcp_f64_e32 v[28:29], v[16:17]
	v_fma_f64 v[38:39], -v[16:17], v[28:29], 1.0
	v_fma_f64 v[28:29], v[28:29], v[38:39], v[28:29]
	v_fma_f64 v[38:39], -v[16:17], v[28:29], 1.0
	v_fma_f64 v[28:29], v[28:29], v[38:39], v[28:29]
	v_div_scale_f64 v[38:39], vcc_lo, v[8:9], v[12:13], v[8:9]
	v_mul_f64 v[46:47], v[38:39], v[28:29]
	v_fma_f64 v[16:17], -v[16:17], v[46:47], v[38:39]
	v_div_fmas_f64 v[16:17], v[16:17], v[28:29], v[46:47]
	v_div_fixup_f64 v[8:9], v[16:17], v[12:13], v[8:9]
	v_mul_f64 v[12:13], v[84:85], v[34:35]
	v_mul_f64 v[8:9], v[8:9], v[32:33]
	;; [unrolled: 1-line block ×8, first 2 shown]
	v_div_scale_f64 v[16:17], null, v[94:95], v[94:95], v[12:13]
	v_rcp_f64_e32 v[28:29], v[16:17]
	v_fma_f64 v[38:39], -v[16:17], v[28:29], 1.0
	v_fma_f64 v[28:29], v[28:29], v[38:39], v[28:29]
	v_fma_f64 v[38:39], -v[16:17], v[28:29], 1.0
	v_fma_f64 v[28:29], v[28:29], v[38:39], v[28:29]
	v_div_scale_f64 v[38:39], vcc_lo, v[12:13], v[94:95], v[12:13]
	v_mul_f64 v[46:47], v[38:39], v[28:29]
	v_fma_f64 v[16:17], -v[16:17], v[46:47], v[38:39]
	v_div_fmas_f64 v[16:17], v[16:17], v[28:29], v[46:47]
	v_div_fixup_f64 v[12:13], v[16:17], v[94:95], v[12:13]
	v_fma_f64 v[16:17], v[26:27], v[20:21], v[30:31]
	v_mul_f64 v[12:13], v[4:5], v[12:13]
	v_mul_f64 v[16:17], v[104:105], v[16:17]
	v_div_scale_f64 v[20:21], null, v[100:101], v[100:101], v[16:17]
	v_rcp_f64_e32 v[26:27], v[20:21]
	v_fma_f64 v[28:29], -v[20:21], v[26:27], 1.0
	v_fma_f64 v[26:27], v[26:27], v[28:29], v[26:27]
	v_fma_f64 v[28:29], -v[20:21], v[26:27], 1.0
	v_fma_f64 v[26:27], v[26:27], v[28:29], v[26:27]
	v_div_scale_f64 v[28:29], vcc_lo, v[16:17], v[100:101], v[16:17]
	v_mul_f64 v[30:31], v[28:29], v[26:27]
	v_fma_f64 v[20:21], -v[20:21], v[30:31], v[28:29]
	v_div_fmas_f64 v[20:21], v[20:21], v[26:27], v[30:31]
	v_div_fixup_f64 v[16:17], v[20:21], v[100:101], v[16:17]
	v_mul_f64 v[20:21], v[102:103], v[92:93]
	v_div_scale_f64 v[26:27], null, v[100:101], v[100:101], v[20:21]
	v_rcp_f64_e32 v[28:29], v[26:27]
	v_fma_f64 v[30:31], -v[26:27], v[28:29], 1.0
	v_fma_f64 v[28:29], v[28:29], v[30:31], v[28:29]
	v_fma_f64 v[30:31], -v[26:27], v[28:29], 1.0
	v_fma_f64 v[28:29], v[28:29], v[30:31], v[28:29]
	v_div_scale_f64 v[30:31], vcc_lo, v[20:21], v[100:101], v[20:21]
	v_mul_f64 v[38:39], v[30:31], v[28:29]
	v_fma_f64 v[26:27], -v[26:27], v[38:39], v[30:31]
	v_div_fmas_f64 v[26:27], v[26:27], v[28:29], v[38:39]
	v_div_fixup_f64 v[20:21], v[26:27], v[100:101], v[20:21]
	v_add_f64 v[16:17], v[16:17], -v[20:21]
	v_div_scale_f64 v[20:21], null, v[24:25], v[24:25], v[12:13]
	v_rcp_f64_e32 v[26:27], v[20:21]
	v_fma_f64 v[28:29], -v[20:21], v[26:27], 1.0
	v_fma_f64 v[26:27], v[26:27], v[28:29], v[26:27]
	v_fma_f64 v[28:29], -v[20:21], v[26:27], 1.0
	v_fma_f64 v[26:27], v[26:27], v[28:29], v[26:27]
	v_div_scale_f64 v[28:29], vcc_lo, v[12:13], v[24:25], v[12:13]
	v_mul_f64 v[30:31], v[28:29], v[26:27]
	v_fma_f64 v[20:21], -v[20:21], v[30:31], v[28:29]
	v_div_fmas_f64 v[20:21], v[20:21], v[26:27], v[30:31]
	v_div_fixup_f64 v[12:13], v[20:21], v[24:25], v[12:13]
	v_add_f64 v[12:13], v[16:17], -v[12:13]
	v_fma_f64 v[6:7], v[6:7], v[12:13], v[8:9]
	v_cmp_ngt_f64_e64 s0, |v[6:7]|, s[0:1]
	s_and_saveexec_b32 s1, s0
	s_xor_b32 s0, exec_lo, s1
; %bb.70:
	v_mul_f64 v[60:61], s[12:13], v[10:11]
                                        ; implicit-def: $vgpr6_vgpr7
                                        ; implicit-def: $vgpr10_vgpr11
; %bb.71:
	s_andn2_saveexec_b32 s1, s0
	s_cbranch_execz .LBB0_73
; %bb.72:
	v_mul_f64 v[8:9], s[12:13], v[6:7]
	s_mov_b32 s2, 0x652b82fe
	s_mov_b32 s3, 0x3ff71547
	;; [unrolled: 1-line block ×4, first 2 shown]
	v_mul_f64 v[12:13], v[8:9], s[2:3]
	s_mov_b32 s2, 0xfefa39ef
	s_mov_b32 s3, 0xbfe62e42
	v_cmp_nlt_f64_e32 vcc_lo, 0x40900000, v[8:9]
	v_cmp_ngt_f64_e64 s0, 0xc090cc00, v[8:9]
	v_rndne_f64_e32 v[12:13], v[12:13]
	v_fma_f64 v[16:17], v[12:13], s[2:3], v[8:9]
	s_mov_b32 s2, 0x3b39803f
	s_mov_b32 s3, 0xbc7abc9e
	v_cvt_i32_f64_e32 v24, v[12:13]
	v_fma_f64 v[16:17], v[12:13], s[2:3], v[16:17]
	s_mov_b32 s2, 0xfca7ab0c
	s_mov_b32 s3, 0x3e928af3
	v_fma_f64 v[20:21], v[16:17], s[4:5], s[2:3]
	s_mov_b32 s2, 0x623fde64
	s_mov_b32 s3, 0x3ec71dee
	;; [unrolled: 3-line block ×9, first 2 shown]
	v_fma_f64 v[20:21], v[16:17], v[20:21], s[2:3]
	v_fma_f64 v[20:21], v[16:17], v[20:21], 1.0
	v_fma_f64 v[12:13], v[16:17], v[20:21], 1.0
	v_ldexp_f64 v[12:13], v[12:13], v24
	v_add_f64 v[12:13], v[12:13], -1.0
	v_cndmask_b32_e32 v13, 0x7ff00000, v13, vcc_lo
	s_and_b32 vcc_lo, s0, vcc_lo
	v_cndmask_b32_e32 v8, 0, v12, vcc_lo
	v_cndmask_b32_e64 v9, 0xbff00000, v13, s0
	v_mul_f64 v[8:9], v[10:11], v[8:9]
	v_div_scale_f64 v[10:11], null, v[6:7], v[6:7], v[8:9]
	v_rcp_f64_e32 v[12:13], v[10:11]
	v_fma_f64 v[16:17], -v[10:11], v[12:13], 1.0
	v_fma_f64 v[12:13], v[12:13], v[16:17], v[12:13]
	v_fma_f64 v[16:17], -v[10:11], v[12:13], 1.0
	v_fma_f64 v[12:13], v[12:13], v[16:17], v[12:13]
	v_div_scale_f64 v[16:17], vcc_lo, v[8:9], v[6:7], v[8:9]
	v_mul_f64 v[20:21], v[16:17], v[12:13]
	v_fma_f64 v[10:11], -v[10:11], v[20:21], v[16:17]
	v_div_fmas_f64 v[10:11], v[10:11], v[12:13], v[20:21]
	v_div_fixup_f64 v[60:61], v[10:11], v[6:7], v[8:9]
.LBB0_73:
	s_or_b32 exec_lo, exec_lo, s1
	v_mul_f64 v[6:7], v[2:3], -v[18:19]
	s_clause 0x1
	buffer_load_dword v4, off, s[56:59], 0 offset:288
	buffer_load_dword v5, off, s[56:59], 0 offset:292
	s_mov_b32 s5, 0xbfe62e42
	s_mov_b32 s4, 0xfefa39ef
	;; [unrolled: 1-line block ×4, first 2 shown]
	v_mul_f64 v[84:85], v[18:19], v[92:93]
                                        ; implicit-def: $vgpr122_vgpr123
	v_div_scale_f64 v[8:9], null, v[68:69], v[68:69], v[6:7]
	v_rcp_f64_e32 v[12:13], v[8:9]
	v_fma_f64 v[16:17], -v[8:9], v[12:13], 1.0
	v_fma_f64 v[12:13], v[12:13], v[16:17], v[12:13]
	v_fma_f64 v[16:17], -v[8:9], v[12:13], 1.0
	v_fma_f64 v[12:13], v[12:13], v[16:17], v[12:13]
	v_div_scale_f64 v[16:17], vcc_lo, v[6:7], v[68:69], v[6:7]
	v_mul_f64 v[20:21], v[16:17], v[12:13]
	v_fma_f64 v[8:9], -v[8:9], v[20:21], v[16:17]
	v_div_fmas_f64 v[8:9], v[8:9], v[12:13], v[20:21]
	v_div_fixup_f64 v[6:7], v[8:9], v[68:69], v[6:7]
	v_mul_f64 v[8:9], v[6:7], s[6:7]
	v_cmp_nlt_f64_e32 vcc_lo, 0x40900000, v[6:7]
	v_cmp_ngt_f64_e64 s0, 0xc090cc00, v[6:7]
	v_rndne_f64_e32 v[8:9], v[8:9]
	v_fma_f64 v[12:13], v[8:9], s[4:5], v[6:7]
	v_fma_f64 v[12:13], v[8:9], s[2:3], v[12:13]
	v_cvt_i32_f64_e32 v8, v[8:9]
	s_waitcnt vmcnt(0)
	v_mul_f64 v[100:101], v[4:5], v[76:77]
	s_clause 0x1
	buffer_load_dword v4, off, s[56:59], 0 offset:272
	buffer_load_dword v5, off, s[56:59], 0 offset:276
	v_fma_f64 v[16:17], v[12:13], s[14:15], s[8:9]
	v_mul_f64 v[26:27], v[90:91], v[100:101]
	v_fma_f64 v[16:17], v[12:13], v[16:17], s[16:17]
	v_fma_f64 v[16:17], v[12:13], v[16:17], s[18:19]
	;; [unrolled: 1-line block ×8, first 2 shown]
	v_fma_f64 v[16:17], v[12:13], v[16:17], 1.0
	v_fma_f64 v[12:13], v[12:13], v[16:17], 1.0
	v_ldexp_f64 v[8:9], v[12:13], v8
	v_cndmask_b32_e32 v9, 0x7ff00000, v9, vcc_lo
	s_and_b32 vcc_lo, s0, vcc_lo
	v_cndmask_b32_e32 v104, 0, v8, vcc_lo
	v_cndmask_b32_e64 v105, 0, v9, s0
	s_mov_b32 s0, 0x7318fc50
	s_mov_b32 s1, 0x3fa212d7
	v_fma_f64 v[6:7], v[104:105], s[0:1], 1.0
	s_mov_b32 s0, 0x9999999a
	s_mov_b32 s1, 0xbfb99999
	v_mul_f64 v[8:9], v[18:19], s[0:1]
	v_mul_f64 v[8:9], v[2:3], v[8:9]
	s_waitcnt vmcnt(0)
	v_add_f64 v[48:49], v[90:91], v[4:5]
	s_clause 0x1
	buffer_load_dword v4, off, s[56:59], 0 offset:280
	buffer_load_dword v5, off, s[56:59], 0 offset:284
	v_div_scale_f64 v[12:13], null, v[68:69], v[68:69], v[8:9]
	v_rcp_f64_e32 v[16:17], v[12:13]
	v_fma_f64 v[20:21], -v[12:13], v[16:17], 1.0
	v_fma_f64 v[16:17], v[16:17], v[20:21], v[16:17]
	v_fma_f64 v[20:21], -v[12:13], v[16:17], 1.0
	v_fma_f64 v[16:17], v[16:17], v[20:21], v[16:17]
	v_div_scale_f64 v[20:21], vcc_lo, v[8:9], v[68:69], v[8:9]
	v_mul_f64 v[24:25], v[20:21], v[16:17]
	v_fma_f64 v[12:13], -v[12:13], v[24:25], v[20:21]
	v_div_fmas_f64 v[12:13], v[12:13], v[16:17], v[24:25]
	v_div_fixup_f64 v[8:9], v[12:13], v[68:69], v[8:9]
	v_mul_f64 v[12:13], v[8:9], s[6:7]
	v_cmp_nlt_f64_e32 vcc_lo, 0x40900000, v[8:9]
	v_cmp_ngt_f64_e64 s0, 0xc090cc00, v[8:9]
	s_mov_b32 s6, 0x6b47b09a
	s_mov_b32 s7, 0x3fc38538
	v_rndne_f64_e32 v[12:13], v[12:13]
	v_fma_f64 v[16:17], v[12:13], s[4:5], v[8:9]
	s_mov_b32 s5, 0x3fe62e42
	v_fma_f64 v[16:17], v[12:13], s[2:3], v[16:17]
	v_cvt_i32_f64_e32 v12, v[12:13]
	s_mov_b32 s3, 0x3c7abc9e
	s_waitcnt vmcnt(0)
	v_add_f64 v[46:47], v[4:5], v[76:77]
	s_clause 0x1
	buffer_load_dword v4, off, s[56:59], 0 offset:56
	buffer_load_dword v5, off, s[56:59], 0 offset:60
	v_fma_f64 v[20:21], v[16:17], s[14:15], s[8:9]
	s_mov_b32 s8, 0xbf559e2b
	s_mov_b32 s9, 0x3fc3ab76
	v_mul_f64 v[10:11], v[48:49], v[46:47]
	v_fma_f64 v[20:21], v[16:17], v[20:21], s[16:17]
	v_fma_f64 v[20:21], v[16:17], v[20:21], s[18:19]
	;; [unrolled: 1-line block ×8, first 2 shown]
	v_fma_f64 v[20:21], v[16:17], v[20:21], 1.0
	v_fma_f64 v[16:17], v[16:17], v[20:21], 1.0
	v_ldexp_f64 v[12:13], v[16:17], v12
	v_cndmask_b32_e32 v13, 0x7ff00000, v13, vcc_lo
	s_and_b32 vcc_lo, s0, vcc_lo
	v_cndmask_b32_e32 v106, 0, v12, vcc_lo
	v_cndmask_b32_e64 v107, 0, v13, s0
	s_mov_b32 s0, 0x645a1cac
	s_mov_b32 s1, 0x3fbfdf3b
	v_fma_f64 v[110:111], v[106:107], s[0:1], v[6:7]
	s_mov_b32 s1, 0x3fe55555
	s_mov_b32 s0, 0x55555555
	v_mul_f64 v[6:7], v[10:11], v[110:111]
	v_div_scale_f64 v[8:9], null, v[6:7], v[6:7], v[26:27]
	v_rcp_f64_e32 v[12:13], v[8:9]
	v_fma_f64 v[16:17], -v[8:9], v[12:13], 1.0
	v_fma_f64 v[12:13], v[12:13], v[16:17], v[12:13]
	v_fma_f64 v[16:17], -v[8:9], v[12:13], 1.0
	v_fma_f64 v[12:13], v[12:13], v[16:17], v[12:13]
	v_div_scale_f64 v[16:17], vcc_lo, v[26:27], v[6:7], v[26:27]
	v_mul_f64 v[20:21], v[16:17], v[12:13]
	v_fma_f64 v[8:9], -v[8:9], v[20:21], v[16:17]
	v_div_fmas_f64 v[8:9], v[8:9], v[12:13], v[20:21]
	v_div_fixup_f64 v[102:103], v[8:9], v[6:7], v[26:27]
	v_div_scale_f64 v[8:9], null, v[90:91], v[90:91], v[82:83]
	v_rcp_f64_e32 v[12:13], v[8:9]
	v_fma_f64 v[16:17], -v[8:9], v[12:13], 1.0
	v_fma_f64 v[12:13], v[12:13], v[16:17], v[12:13]
	v_fma_f64 v[16:17], -v[8:9], v[12:13], 1.0
	v_fma_f64 v[12:13], v[12:13], v[16:17], v[12:13]
	v_div_scale_f64 v[16:17], vcc_lo, v[82:83], v[90:91], v[82:83]
	v_mul_f64 v[20:21], v[16:17], v[12:13]
	v_fma_f64 v[8:9], -v[8:9], v[20:21], v[16:17]
	v_div_fmas_f64 v[8:9], v[8:9], v[12:13], v[20:21]
	v_div_fixup_f64 v[8:9], v[8:9], v[90:91], v[82:83]
	v_frexp_mant_f64_e32 v[12:13], v[8:9]
	v_frexp_exp_i32_f64_e32 v16, v[8:9]
	v_cmp_gt_f64_e32 vcc_lo, s[0:1], v[12:13]
	s_mov_b32 s0, 0x55555780
	v_cndmask_b32_e64 v17, 0, 1, vcc_lo
	v_subrev_co_ci_u32_e64 v38, null, 0, v16, vcc_lo
	v_cmp_class_f64_e64 vcc_lo, v[8:9], 0x204
	v_ldexp_f64 v[12:13], v[12:13], v17
	v_add_f64 v[20:21], v[12:13], 1.0
	v_add_f64 v[16:17], v[12:13], -1.0
	v_add_f64 v[24:25], v[20:21], -1.0
	v_add_f64 v[12:13], v[12:13], -v[24:25]
	v_rcp_f64_e32 v[24:25], v[20:21]
	v_fma_f64 v[28:29], -v[20:21], v[24:25], 1.0
	v_fma_f64 v[24:25], v[28:29], v[24:25], v[24:25]
	v_fma_f64 v[28:29], -v[20:21], v[24:25], 1.0
	v_fma_f64 v[24:25], v[28:29], v[24:25], v[24:25]
	v_mul_f64 v[28:29], v[16:17], v[24:25]
	v_mul_f64 v[30:31], v[20:21], v[28:29]
	v_fma_f64 v[20:21], v[28:29], v[20:21], -v[30:31]
	v_fma_f64 v[12:13], v[28:29], v[12:13], v[20:21]
	v_add_f64 v[20:21], v[30:31], v[12:13]
	v_add_f64 v[32:33], v[16:17], -v[20:21]
	v_add_f64 v[30:31], v[20:21], -v[30:31]
	;; [unrolled: 1-line block ×5, first 2 shown]
	v_add_f64 v[12:13], v[12:13], v[16:17]
	v_add_f64 v[12:13], v[32:33], v[12:13]
	v_mul_f64 v[12:13], v[24:25], v[12:13]
	v_add_f64 v[16:17], v[28:29], v[12:13]
	v_add_f64 v[20:21], v[16:17], -v[28:29]
	v_ldexp_f64 v[28:29], v[16:17], 1
	v_add_f64 v[12:13], v[12:13], -v[20:21]
	v_mul_f64 v[20:21], v[16:17], v[16:17]
	v_ldexp_f64 v[12:13], v[12:13], 1
	v_fma_f64 v[24:25], v[20:21], s[8:9], s[6:7]
	s_mov_b32 s6, 0xd7f4df2e
	s_mov_b32 s7, 0x3fc7474d
	v_mul_f64 v[16:17], v[16:17], v[20:21]
	v_fma_f64 v[24:25], v[20:21], v[24:25], s[6:7]
	s_mov_b32 s6, 0x16291751
	s_mov_b32 s7, 0x3fcc71c0
	v_fma_f64 v[24:25], v[20:21], v[24:25], s[6:7]
	s_mov_b32 s6, 0x9b27acf1
	s_mov_b32 s7, 0x3fd24924
	;; [unrolled: 3-line block ×3, first 2 shown]
	v_fma_f64 v[24:25], v[20:21], v[24:25], s[6:7]
	v_fma_f64 v[24:25], v[20:21], v[24:25], s[0:1]
	s_mov_b32 s0, 0xe2308c3a
	s_mov_b32 s1, 0x3e45798e
	v_mul_f64 v[16:17], v[16:17], v[24:25]
	v_add_f64 v[20:21], v[28:29], v[16:17]
	v_add_f64 v[24:25], v[20:21], -v[28:29]
	v_add_f64 v[16:17], v[16:17], -v[24:25]
	v_add_f64 v[12:13], v[12:13], v[16:17]
	v_add_f64 v[16:17], v[20:21], v[12:13]
	v_add_f64 v[20:21], v[16:17], -v[20:21]
	v_add_f64 v[12:13], v[12:13], -v[20:21]
	v_cvt_f64_i32_e32 v[20:21], v38
	v_mul_f64 v[24:25], v[20:21], s[4:5]
	v_fma_f64 v[28:29], v[20:21], s[4:5], -v[24:25]
	v_fma_f64 v[20:21], v[20:21], s[2:3], v[28:29]
	v_add_f64 v[28:29], v[24:25], v[20:21]
	v_add_f64 v[24:25], v[28:29], -v[24:25]
	v_add_f64 v[20:21], v[20:21], -v[24:25]
	v_add_f64 v[24:25], v[28:29], v[16:17]
	v_add_f64 v[30:31], v[24:25], -v[28:29]
	v_add_f64 v[32:33], v[24:25], -v[30:31]
	;; [unrolled: 1-line block ×4, first 2 shown]
	v_add_f64 v[16:17], v[16:17], v[28:29]
	v_add_f64 v[28:29], v[20:21], v[12:13]
	v_add_f64 v[30:31], v[28:29], -v[20:21]
	v_add_f64 v[16:17], v[28:29], v[16:17]
	v_add_f64 v[32:33], v[28:29], -v[30:31]
	v_add_f64 v[12:13], v[12:13], -v[30:31]
	;; [unrolled: 1-line block ×3, first 2 shown]
	v_add_f64 v[12:13], v[12:13], v[20:21]
	v_add_f64 v[20:21], v[24:25], v[16:17]
	v_add_f64 v[24:25], v[20:21], -v[24:25]
	v_add_f64 v[16:17], v[16:17], -v[24:25]
	v_add_f64 v[12:13], v[12:13], v[16:17]
	v_add_f64 v[12:13], v[20:21], v[12:13]
	v_cndmask_b32_e32 v12, v12, v8, vcc_lo
	v_cndmask_b32_e64 v13, -v13, -v9, vcc_lo
	v_cmp_ngt_f64_e32 vcc_lo, 0, v[8:9]
	v_cndmask_b32_e32 v13, 0xfff80000, v13, vcc_lo
	v_cmp_nge_f64_e32 vcc_lo, 0, v[8:9]
	v_cndmask_b32_e32 v12, 0, v12, vcc_lo
	v_cmp_neq_f64_e32 vcc_lo, 0, v[8:9]
	v_cndmask_b32_e32 v13, 0x7ff00000, v13, vcc_lo
	v_mul_f64 v[8:9], v[68:69], v[12:13]
	v_div_scale_f64 v[12:13], null, v[18:19], v[18:19], v[8:9]
	v_rcp_f64_e32 v[16:17], v[12:13]
	v_fma_f64 v[20:21], -v[12:13], v[16:17], 1.0
	v_fma_f64 v[16:17], v[16:17], v[20:21], v[16:17]
	v_fma_f64 v[20:21], -v[12:13], v[16:17], 1.0
	v_fma_f64 v[16:17], v[16:17], v[20:21], v[16:17]
	v_div_scale_f64 v[20:21], vcc_lo, v[8:9], v[18:19], v[8:9]
	v_mul_f64 v[24:25], v[20:21], v[16:17]
	v_fma_f64 v[12:13], -v[12:13], v[24:25], v[20:21]
	v_div_fmas_f64 v[12:13], v[12:13], v[16:17], v[24:25]
	v_div_fixup_f64 v[8:9], v[12:13], v[18:19], v[8:9]
	v_add_f64 v[12:13], v[2:3], v[8:9]
	s_waitcnt vmcnt(0)
	v_mul_f64 v[8:9], v[4:5], v[4:5]
	v_mul_f64 v[8:9], v[4:5], v[8:9]
	s_clause 0x1
	buffer_load_dword v4, off, s[56:59], 0 offset:264
	buffer_load_dword v5, off, s[56:59], 0 offset:268
	s_waitcnt vmcnt(0)
	v_mul_f64 v[16:17], v[8:9], v[4:5]
	s_clause 0x1
	buffer_load_dword v4, off, s[56:59], 0 offset:200
	buffer_load_dword v5, off, s[56:59], 0 offset:204
	v_mul_f64 v[8:9], v[16:17], v[12:13]
	v_mul_f64 v[74:75], v[88:89], v[16:17]
	;; [unrolled: 1-line block ×5, first 2 shown]
	v_add_f64 v[8:9], v[58:59], v[60:61]
	s_waitcnt vmcnt(0)
	global_store_dwordx2 v[4:5], v[8:9], off
	s_clause 0x3
	buffer_load_dword v62, off, s[56:59], 0 offset:16
	buffer_load_dword v63, off, s[56:59], 0 offset:20
	buffer_load_dword v4, off, s[56:59], 0
	buffer_load_dword v5, off, s[56:59], 0 offset:4
	s_waitcnt vmcnt(2)
	v_fma_f64 v[8:9], -v[62:63], v[12:13], -v[30:31]
	v_fma_f64 v[8:9], 0xc0080000, v[0:1], v[8:9]
	v_fma_f64 v[8:9], 0xc0080000, v[102:103], v[8:9]
	s_waitcnt vmcnt(0)
	v_mul_f64 v[8:9], v[4:5], v[8:9]
	v_div_scale_f64 v[20:21], null, v[84:85], v[84:85], v[8:9]
	v_rcp_f64_e32 v[24:25], v[20:21]
	v_fma_f64 v[28:29], -v[20:21], v[24:25], 1.0
	v_fma_f64 v[24:25], v[24:25], v[28:29], v[24:25]
	v_fma_f64 v[28:29], -v[20:21], v[24:25], 1.0
	v_fma_f64 v[24:25], v[24:25], v[28:29], v[24:25]
	v_div_scale_f64 v[28:29], vcc_lo, v[8:9], v[84:85], v[8:9]
	v_mul_f64 v[32:33], v[28:29], v[24:25]
	v_fma_f64 v[20:21], -v[20:21], v[32:33], v[28:29]
	v_div_fmas_f64 v[20:21], v[20:21], v[24:25], v[32:33]
	v_div_fixup_f64 v[8:9], v[20:21], v[84:85], v[8:9]
	s_clause 0x3
	buffer_load_dword v20, off, s[56:59], 0 offset:32
	buffer_load_dword v21, off, s[56:59], 0 offset:36
	;; [unrolled: 1-line block ×4, first 2 shown]
	s_waitcnt vmcnt(0)
	v_mul_f64 v[86:87], v[24:25], -v[20:21]
	v_mul_f64 v[20:21], v[90:91], v[18:19]
	v_div_scale_f64 v[24:25], null, v[20:21], v[20:21], v[86:87]
	v_rcp_f64_e32 v[28:29], v[24:25]
	v_fma_f64 v[32:33], -v[24:25], v[28:29], 1.0
	v_fma_f64 v[28:29], v[28:29], v[32:33], v[28:29]
	v_fma_f64 v[32:33], -v[24:25], v[28:29], 1.0
	v_fma_f64 v[28:29], v[28:29], v[32:33], v[28:29]
	v_div_scale_f64 v[32:33], vcc_lo, v[86:87], v[20:21], v[86:87]
	v_mul_f64 v[38:39], v[32:33], v[28:29]
	v_fma_f64 v[24:25], -v[24:25], v[38:39], v[32:33]
	v_div_fmas_f64 v[24:25], v[24:25], v[28:29], v[38:39]
	s_clause 0x1
	buffer_load_dword v28, off, s[56:59], 0 offset:24
	buffer_load_dword v29, off, s[56:59], 0 offset:28
	v_div_fixup_f64 v[20:21], v[24:25], v[20:21], v[86:87]
	v_mul_f64 v[24:25], 0x40080000, v[108:109]
	s_waitcnt vmcnt(0)
	v_mul_f64 v[24:25], v[28:29], v[24:25]
	v_mul_f64 v[28:29], v[90:91], v[90:91]
	;; [unrolled: 1-line block ×4, first 2 shown]
	v_div_scale_f64 v[28:29], null, v[78:79], v[78:79], v[24:25]
	v_rcp_f64_e32 v[32:33], v[28:29]
	v_fma_f64 v[38:39], -v[28:29], v[32:33], 1.0
	v_fma_f64 v[32:33], v[32:33], v[38:39], v[32:33]
	v_fma_f64 v[38:39], -v[28:29], v[32:33], 1.0
	v_fma_f64 v[32:33], v[32:33], v[38:39], v[32:33]
	v_div_scale_f64 v[38:39], vcc_lo, v[24:25], v[78:79], v[24:25]
	v_mul_f64 v[60:61], v[38:39], v[32:33]
	v_fma_f64 v[28:29], -v[28:29], v[60:61], v[38:39]
	v_div_fmas_f64 v[28:29], v[28:29], v[32:33], v[60:61]
	v_div_fixup_f64 v[24:25], v[28:29], v[78:79], v[24:25]
	v_div_scale_f64 v[28:29], null, v[6:7], v[6:7], v[100:101]
	v_rcp_f64_e32 v[32:33], v[28:29]
	v_fma_f64 v[38:39], -v[28:29], v[32:33], 1.0
	v_fma_f64 v[32:33], v[32:33], v[38:39], v[32:33]
	v_fma_f64 v[38:39], -v[28:29], v[32:33], 1.0
	v_fma_f64 v[32:33], v[32:33], v[38:39], v[32:33]
	v_div_scale_f64 v[38:39], vcc_lo, v[100:101], v[6:7], v[100:101]
	v_mul_f64 v[60:61], v[38:39], v[32:33]
	v_fma_f64 v[28:29], -v[28:29], v[60:61], v[38:39]
	v_div_fmas_f64 v[28:29], v[28:29], v[32:33], v[60:61]
	v_div_fixup_f64 v[6:7], v[28:29], v[6:7], v[100:101]
	v_mul_f64 v[28:29], v[48:49], v[48:49]
	v_mul_f64 v[28:29], v[28:29], v[46:47]
	;; [unrolled: 1-line block ×3, first 2 shown]
	v_div_scale_f64 v[32:33], null, v[28:29], v[28:29], v[26:27]
	v_rcp_f64_e32 v[38:39], v[32:33]
	v_fma_f64 v[46:47], -v[32:33], v[38:39], 1.0
	v_fma_f64 v[38:39], v[38:39], v[46:47], v[38:39]
	v_fma_f64 v[46:47], -v[32:33], v[38:39], 1.0
	v_fma_f64 v[38:39], v[38:39], v[46:47], v[38:39]
	v_div_scale_f64 v[46:47], vcc_lo, v[26:27], v[28:29], v[26:27]
	v_mul_f64 v[48:49], v[46:47], v[38:39]
	v_fma_f64 v[32:33], -v[32:33], v[48:49], v[46:47]
	v_div_fmas_f64 v[32:33], v[32:33], v[38:39], v[48:49]
	v_div_fixup_f64 v[26:27], v[32:33], v[28:29], v[26:27]
	v_add_f64 v[6:7], v[6:7], -v[26:27]
	v_mul_f64 v[6:7], 0xc0080000, v[6:7]
	v_fma_f64 v[6:7], 0xc0080000, v[24:25], v[6:7]
	v_fma_f64 v[6:7], v[62:63], v[20:21], v[6:7]
	;; [unrolled: 1-line block ×3, first 2 shown]
	v_mul_f64 v[6:7], v[4:5], v[6:7]
	v_div_scale_f64 v[16:17], null, v[84:85], v[84:85], v[6:7]
	v_rcp_f64_e32 v[20:21], v[16:17]
	v_fma_f64 v[24:25], -v[16:17], v[20:21], 1.0
	v_fma_f64 v[20:21], v[20:21], v[24:25], v[20:21]
	v_fma_f64 v[24:25], -v[16:17], v[20:21], 1.0
	v_fma_f64 v[20:21], v[20:21], v[24:25], v[20:21]
	v_div_scale_f64 v[24:25], vcc_lo, v[6:7], v[84:85], v[6:7]
	v_mul_f64 v[26:27], v[24:25], v[20:21]
	v_fma_f64 v[16:17], -v[16:17], v[26:27], v[24:25]
	v_div_fmas_f64 v[16:17], v[16:17], v[20:21], v[26:27]
	v_div_fixup_f64 v[6:7], v[16:17], v[84:85], v[6:7]
	v_cmp_ngt_f64_e64 s0, |v[6:7]|, s[0:1]
	s_and_saveexec_b32 s1, s0
	s_xor_b32 s0, exec_lo, s1
; %bb.74:
	v_mul_f64 v[122:123], s[12:13], v[8:9]
                                        ; implicit-def: $vgpr6_vgpr7
                                        ; implicit-def: $vgpr8_vgpr9
; %bb.75:
	s_or_saveexec_b32 s1, s0
	buffer_store_dword v96, off, s[56:59], 0 offset:264 ; 4-byte Folded Spill
	buffer_store_dword v97, off, s[56:59], 0 offset:268 ; 4-byte Folded Spill
	;; [unrolled: 1-line block ×4, first 2 shown]
	s_clause 0x1
	buffer_load_dword v54, off, s[56:59], 0 offset:136
	buffer_load_dword v55, off, s[56:59], 0 offset:140
	buffer_store_dword v14, off, s[56:59], 0 offset:56 ; 4-byte Folded Spill
	buffer_store_dword v15, off, s[56:59], 0 offset:60 ; 4-byte Folded Spill
	s_clause 0x1
	buffer_load_dword v14, off, s[56:59], 0 offset:16
	buffer_load_dword v15, off, s[56:59], 0 offset:20
	v_mov_b32_e32 v4, v52
	v_mov_b32_e32 v5, v53
	s_waitcnt vmcnt(0)
	v_mul_f64 v[112:113], v[14:15], v[12:13]
	s_xor_b32 exec_lo, exec_lo, s1
	s_cbranch_execz .LBB0_77
; %bb.76:
	v_mul_f64 v[12:13], s[12:13], v[6:7]
	s_mov_b32 s2, 0x652b82fe
	s_mov_b32 s3, 0x3ff71547
	;; [unrolled: 1-line block ×4, first 2 shown]
	v_mul_f64 v[16:17], v[12:13], s[2:3]
	s_mov_b32 s2, 0xfefa39ef
	s_mov_b32 s3, 0xbfe62e42
	v_cmp_nlt_f64_e32 vcc_lo, 0x40900000, v[12:13]
	v_cmp_ngt_f64_e64 s0, 0xc090cc00, v[12:13]
	v_rndne_f64_e32 v[16:17], v[16:17]
	v_fma_f64 v[20:21], v[16:17], s[2:3], v[12:13]
	s_mov_b32 s2, 0x3b39803f
	s_mov_b32 s3, 0xbc7abc9e
	v_cvt_i32_f64_e32 v26, v[16:17]
	v_fma_f64 v[20:21], v[16:17], s[2:3], v[20:21]
	s_mov_b32 s2, 0xfca7ab0c
	s_mov_b32 s3, 0x3e928af3
	v_fma_f64 v[24:25], v[20:21], s[4:5], s[2:3]
	s_mov_b32 s2, 0x623fde64
	s_mov_b32 s3, 0x3ec71dee
	;; [unrolled: 3-line block ×9, first 2 shown]
	v_fma_f64 v[24:25], v[20:21], v[24:25], s[2:3]
	v_fma_f64 v[24:25], v[20:21], v[24:25], 1.0
	v_fma_f64 v[16:17], v[20:21], v[24:25], 1.0
	v_ldexp_f64 v[16:17], v[16:17], v26
	v_add_f64 v[16:17], v[16:17], -1.0
	v_cndmask_b32_e32 v17, 0x7ff00000, v17, vcc_lo
	s_and_b32 vcc_lo, s0, vcc_lo
	v_cndmask_b32_e32 v12, 0, v16, vcc_lo
	v_cndmask_b32_e64 v13, 0xbff00000, v17, s0
	v_mul_f64 v[8:9], v[12:13], v[8:9]
	v_div_scale_f64 v[12:13], null, v[6:7], v[6:7], v[8:9]
	v_rcp_f64_e32 v[16:17], v[12:13]
	v_fma_f64 v[20:21], -v[12:13], v[16:17], 1.0
	v_fma_f64 v[16:17], v[16:17], v[20:21], v[16:17]
	v_fma_f64 v[20:21], -v[12:13], v[16:17], 1.0
	v_fma_f64 v[16:17], v[16:17], v[20:21], v[16:17]
	v_div_scale_f64 v[20:21], vcc_lo, v[8:9], v[6:7], v[8:9]
	v_mul_f64 v[24:25], v[20:21], v[16:17]
	v_fma_f64 v[12:13], -v[12:13], v[24:25], v[20:21]
	v_div_fmas_f64 v[12:13], v[12:13], v[16:17], v[24:25]
	v_div_fixup_f64 v[122:123], v[12:13], v[6:7], v[8:9]
.LBB0_77:
	s_or_b32 exec_lo, exec_lo, s1
	s_clause 0x1
	buffer_load_dword v38, off, s[56:59], 0 offset:8
	buffer_load_dword v39, off, s[56:59], 0 offset:12
	s_mov_b32 s36, 0x55555555
	s_mov_b32 s37, 0x3fe55555
	s_mov_b32 s38, 0x6b47b09a
	s_mov_b32 s40, 0xbf559e2b
	s_mov_b32 s39, 0x3fc38538
	s_mov_b32 s41, 0x3fc3ab76
	s_mov_b32 s42, 0xd7f4df2e
	s_mov_b32 s43, 0x3fc7474d
	s_mov_b32 s44, 0x16291751
	s_mov_b32 s45, 0x3fcc71c0
	s_mov_b32 s46, 0x9b27acf1
	s_mov_b32 s47, 0x3fd24924
	s_mov_b32 s48, 0x998ef7b6
	s_mov_b32 s49, 0x3fd99999
	s_mov_b32 s50, 0x55555780
	s_mov_b32 s51, s37
	s_mov_b32 s34, 0xfefa39ef
	s_mov_b32 s35, 0x3fe62e42
	s_mov_b32 s52, 0x3b39803f
	s_mov_b32 s53, 0x3c7abc9e
	s_mov_b32 s0, 0x41ed2a05
	s_mov_b32 s1, 0xbfc56799
	s_mov_b32 s2, 0x652b82fe
	s_mov_b32 s3, 0x3ff71547
	s_clause 0x1
	buffer_load_dword v52, off, s[56:59], 0 offset:72
	buffer_load_dword v53, off, s[56:59], 0 offset:76
	s_mov_b32 s5, 0xbfe62e42
	s_mov_b32 s4, s34
	;; [unrolled: 1-line block ×6, first 2 shown]
	s_clause 0x1
	buffer_load_dword v56, off, s[56:59], 0 offset:192
	buffer_load_dword v57, off, s[56:59], 0 offset:196
	v_mov_b32_e32 v96, v118
	v_mov_b32_e32 v97, v119
	s_waitcnt vmcnt(4)
	v_div_scale_f64 v[6:7], null, v[38:39], v[38:39], v[76:77]
	v_rcp_f64_e32 v[8:9], v[6:7]
	v_fma_f64 v[12:13], -v[6:7], v[8:9], 1.0
	v_fma_f64 v[8:9], v[8:9], v[12:13], v[8:9]
	v_fma_f64 v[12:13], -v[6:7], v[8:9], 1.0
	v_fma_f64 v[8:9], v[8:9], v[12:13], v[8:9]
	v_div_scale_f64 v[12:13], vcc_lo, v[76:77], v[38:39], v[76:77]
	v_mul_f64 v[16:17], v[12:13], v[8:9]
	v_fma_f64 v[6:7], -v[6:7], v[16:17], v[12:13]
	v_div_fmas_f64 v[6:7], v[6:7], v[8:9], v[16:17]
	v_div_fixup_f64 v[6:7], v[6:7], v[38:39], v[76:77]
	v_frexp_mant_f64_e32 v[8:9], v[6:7]
	v_frexp_exp_i32_f64_e32 v12, v[6:7]
	v_cmp_gt_f64_e32 vcc_lo, s[36:37], v[8:9]
	v_cndmask_b32_e64 v13, 0, 1, vcc_lo
	v_subrev_co_ci_u32_e64 v32, null, 0, v12, vcc_lo
	v_cmp_class_f64_e64 vcc_lo, v[6:7], 0x204
	v_ldexp_f64 v[8:9], v[8:9], v13
	v_add_f64 v[16:17], v[8:9], 1.0
	v_add_f64 v[12:13], v[8:9], -1.0
	v_add_f64 v[20:21], v[16:17], -1.0
	v_add_f64 v[8:9], v[8:9], -v[20:21]
	v_rcp_f64_e32 v[20:21], v[16:17]
	v_fma_f64 v[24:25], -v[16:17], v[20:21], 1.0
	v_fma_f64 v[20:21], v[24:25], v[20:21], v[20:21]
	v_fma_f64 v[24:25], -v[16:17], v[20:21], 1.0
	v_fma_f64 v[20:21], v[24:25], v[20:21], v[20:21]
	v_mul_f64 v[24:25], v[12:13], v[20:21]
	v_mul_f64 v[26:27], v[16:17], v[24:25]
	v_fma_f64 v[16:17], v[24:25], v[16:17], -v[26:27]
	v_fma_f64 v[8:9], v[24:25], v[8:9], v[16:17]
	v_add_f64 v[16:17], v[26:27], v[8:9]
	v_add_f64 v[28:29], v[12:13], -v[16:17]
	v_add_f64 v[26:27], v[16:17], -v[26:27]
	;; [unrolled: 1-line block ×5, first 2 shown]
	v_add_f64 v[8:9], v[8:9], v[12:13]
	v_add_f64 v[8:9], v[28:29], v[8:9]
	v_mul_f64 v[8:9], v[20:21], v[8:9]
	v_add_f64 v[12:13], v[24:25], v[8:9]
	v_add_f64 v[16:17], v[12:13], -v[24:25]
	v_ldexp_f64 v[24:25], v[12:13], 1
	v_add_f64 v[8:9], v[8:9], -v[16:17]
	v_mul_f64 v[16:17], v[12:13], v[12:13]
	v_ldexp_f64 v[8:9], v[8:9], 1
	v_fma_f64 v[20:21], v[16:17], s[40:41], s[38:39]
	v_mul_f64 v[12:13], v[12:13], v[16:17]
	v_fma_f64 v[20:21], v[16:17], v[20:21], s[42:43]
	v_fma_f64 v[20:21], v[16:17], v[20:21], s[44:45]
	;; [unrolled: 1-line block ×5, first 2 shown]
	v_mul_f64 v[12:13], v[12:13], v[20:21]
	v_add_f64 v[16:17], v[24:25], v[12:13]
	v_add_f64 v[20:21], v[16:17], -v[24:25]
	v_add_f64 v[12:13], v[12:13], -v[20:21]
	v_add_f64 v[8:9], v[8:9], v[12:13]
	v_add_f64 v[12:13], v[16:17], v[8:9]
	v_add_f64 v[16:17], v[12:13], -v[16:17]
	v_add_f64 v[8:9], v[8:9], -v[16:17]
	v_cvt_f64_i32_e32 v[16:17], v32
	v_mul_f64 v[20:21], v[16:17], s[34:35]
	v_fma_f64 v[24:25], v[16:17], s[34:35], -v[20:21]
	v_fma_f64 v[16:17], v[16:17], s[52:53], v[24:25]
	v_add_f64 v[24:25], v[20:21], v[16:17]
	v_add_f64 v[20:21], v[24:25], -v[20:21]
	v_add_f64 v[16:17], v[16:17], -v[20:21]
	v_add_f64 v[20:21], v[24:25], v[12:13]
	v_add_f64 v[26:27], v[20:21], -v[24:25]
	v_add_f64 v[28:29], v[20:21], -v[26:27]
	;; [unrolled: 1-line block ×4, first 2 shown]
	v_add_f64 v[12:13], v[12:13], v[24:25]
	v_add_f64 v[24:25], v[16:17], v[8:9]
	v_add_f64 v[26:27], v[24:25], -v[16:17]
	v_add_f64 v[12:13], v[24:25], v[12:13]
	v_add_f64 v[28:29], v[24:25], -v[26:27]
	v_add_f64 v[8:9], v[8:9], -v[26:27]
	;; [unrolled: 1-line block ×3, first 2 shown]
	v_add_f64 v[8:9], v[8:9], v[16:17]
	v_add_f64 v[16:17], v[20:21], v[12:13]
	v_add_f64 v[20:21], v[16:17], -v[20:21]
	v_add_f64 v[12:13], v[12:13], -v[20:21]
	v_add_f64 v[8:9], v[8:9], v[12:13]
	v_add_f64 v[8:9], v[16:17], v[8:9]
	v_cndmask_b32_e32 v8, v8, v6, vcc_lo
	v_cndmask_b32_e32 v9, v9, v7, vcc_lo
	v_cmp_ngt_f64_e32 vcc_lo, 0, v[6:7]
	v_cndmask_b32_e32 v9, 0x7ff80000, v9, vcc_lo
	v_cmp_nge_f64_e32 vcc_lo, 0, v[6:7]
	v_cndmask_b32_e32 v8, 0, v8, vcc_lo
	v_cmp_neq_f64_e32 vcc_lo, 0, v[6:7]
	v_cndmask_b32_e32 v9, 0xfff00000, v9, vcc_lo
	v_mul_f64 v[6:7], v[68:69], v[8:9]
	v_div_scale_f64 v[8:9], null, v[18:19], v[18:19], v[6:7]
	v_rcp_f64_e32 v[12:13], v[8:9]
	v_fma_f64 v[16:17], -v[8:9], v[12:13], 1.0
	v_fma_f64 v[12:13], v[12:13], v[16:17], v[12:13]
	v_fma_f64 v[16:17], -v[8:9], v[12:13], 1.0
	v_fma_f64 v[12:13], v[12:13], v[16:17], v[12:13]
	v_div_scale_f64 v[16:17], vcc_lo, v[6:7], v[18:19], v[6:7]
	v_mul_f64 v[20:21], v[16:17], v[12:13]
	v_fma_f64 v[8:9], -v[8:9], v[20:21], v[16:17]
	v_div_fmas_f64 v[8:9], v[8:9], v[12:13], v[20:21]
	v_div_fixup_f64 v[24:25], v[8:9], v[18:19], v[6:7]
	v_mul_f64 v[8:9], v[2:3], s[0:1]
	v_add_f64 v[46:47], v[2:3], -v[24:25]
	v_mul_f64 v[12:13], v[8:9], s[2:3]
	v_cmp_nlt_f64_e32 vcc_lo, 0x40900000, v[8:9]
	v_cmp_ngt_f64_e64 s0, 0xc090cc00, v[8:9]
	s_waitcnt vmcnt(2)
	v_mul_f64 v[6:7], v[52:53], v[46:47]
	v_rndne_f64_e32 v[12:13], v[12:13]
	v_fma_f64 v[16:17], v[12:13], s[4:5], v[8:9]
	v_fma_f64 v[16:17], v[12:13], s[6:7], v[16:17]
	v_cvt_i32_f64_e32 v12, v[12:13]
	v_fma_f64 v[20:21], v[16:17], s[14:15], s[8:9]
	v_fma_f64 v[20:21], v[16:17], v[20:21], s[16:17]
	;; [unrolled: 1-line block ×9, first 2 shown]
	v_fma_f64 v[20:21], v[16:17], v[20:21], 1.0
	v_fma_f64 v[16:17], v[16:17], v[20:21], 1.0
	v_ldexp_f64 v[12:13], v[16:17], v12
	v_cndmask_b32_e32 v13, 0x7ff00000, v13, vcc_lo
	s_and_b32 vcc_lo, s0, vcc_lo
	v_cndmask_b32_e32 v60, 0, v12, vcc_lo
	v_cndmask_b32_e64 v61, 0, v13, s0
	s_mov_b32 s0, 0xe01dcc3
	s_mov_b32 s1, 0x405059ef
	v_fma_f64 v[26:27], v[60:61], s[0:1], 1.0
	s_mov_b32 s0, 0xeb851eb8
	s_mov_b32 s1, 0x3faeb851
	v_div_scale_f64 v[8:9], null, v[26:27], v[26:27], v[6:7]
	v_rcp_f64_e32 v[12:13], v[8:9]
	v_fma_f64 v[16:17], -v[8:9], v[12:13], 1.0
	v_fma_f64 v[12:13], v[12:13], v[16:17], v[12:13]
	v_fma_f64 v[16:17], -v[8:9], v[12:13], 1.0
	v_fma_f64 v[12:13], v[12:13], v[16:17], v[12:13]
	v_div_scale_f64 v[16:17], vcc_lo, v[6:7], v[26:27], v[6:7]
	v_mul_f64 v[20:21], v[16:17], v[12:13]
	v_fma_f64 v[8:9], -v[8:9], v[20:21], v[16:17]
	v_div_fmas_f64 v[8:9], v[8:9], v[12:13], v[20:21]
	v_div_fixup_f64 v[88:89], v[8:9], v[26:27], v[6:7]
	s_clause 0x1
	buffer_load_dword v8, off, s[56:59], 0 offset:256
	buffer_load_dword v9, off, s[56:59], 0 offset:260
	s_waitcnt vmcnt(2)
	v_mul_f64 v[6:7], v[56:57], v[46:47]
	v_mul_f64 v[92:93], v[118:119], v[6:7]
	s_waitcnt vmcnt(0)
	v_fma_f64 v[6:7], v[8:9], v[82:83], v[76:77]
	v_fma_f64 v[82:83], v[90:91], v[8:9], v[38:39]
	v_div_scale_f64 v[8:9], null, v[82:83], v[82:83], v[6:7]
	v_rcp_f64_e32 v[12:13], v[8:9]
	v_fma_f64 v[16:17], -v[8:9], v[12:13], 1.0
	v_fma_f64 v[12:13], v[12:13], v[16:17], v[12:13]
	v_fma_f64 v[16:17], -v[8:9], v[12:13], 1.0
	v_fma_f64 v[12:13], v[12:13], v[16:17], v[12:13]
	v_div_scale_f64 v[16:17], vcc_lo, v[6:7], v[82:83], v[6:7]
	v_mul_f64 v[20:21], v[16:17], v[12:13]
	v_fma_f64 v[8:9], -v[8:9], v[20:21], v[16:17]
	v_div_fmas_f64 v[8:9], v[8:9], v[12:13], v[20:21]
	v_div_fixup_f64 v[6:7], v[8:9], v[82:83], v[6:7]
	v_frexp_mant_f64_e32 v[8:9], v[6:7]
	v_frexp_exp_i32_f64_e32 v12, v[6:7]
	v_cmp_gt_f64_e32 vcc_lo, s[36:37], v[8:9]
	v_cndmask_b32_e64 v13, 0, 1, vcc_lo
	v_subrev_co_ci_u32_e64 v48, null, 0, v12, vcc_lo
	v_cmp_class_f64_e64 vcc_lo, v[6:7], 0x204
	v_ldexp_f64 v[8:9], v[8:9], v13
	v_add_f64 v[16:17], v[8:9], 1.0
	v_add_f64 v[12:13], v[8:9], -1.0
	v_add_f64 v[20:21], v[16:17], -1.0
	v_add_f64 v[8:9], v[8:9], -v[20:21]
	v_rcp_f64_e32 v[20:21], v[16:17]
	v_fma_f64 v[28:29], -v[16:17], v[20:21], 1.0
	v_fma_f64 v[20:21], v[28:29], v[20:21], v[20:21]
	v_fma_f64 v[28:29], -v[16:17], v[20:21], 1.0
	v_fma_f64 v[20:21], v[28:29], v[20:21], v[20:21]
	v_mul_f64 v[28:29], v[12:13], v[20:21]
	v_mul_f64 v[32:33], v[16:17], v[28:29]
	v_fma_f64 v[16:17], v[28:29], v[16:17], -v[32:33]
	v_fma_f64 v[8:9], v[28:29], v[8:9], v[16:17]
	v_add_f64 v[16:17], v[32:33], v[8:9]
	v_add_f64 v[38:39], v[12:13], -v[16:17]
	v_add_f64 v[32:33], v[16:17], -v[32:33]
	;; [unrolled: 1-line block ×5, first 2 shown]
	v_add_f64 v[8:9], v[8:9], v[12:13]
	v_add_f64 v[8:9], v[38:39], v[8:9]
	v_mul_f64 v[8:9], v[20:21], v[8:9]
	v_add_f64 v[12:13], v[28:29], v[8:9]
	v_add_f64 v[16:17], v[12:13], -v[28:29]
	v_ldexp_f64 v[28:29], v[12:13], 1
	v_add_f64 v[8:9], v[8:9], -v[16:17]
	v_mul_f64 v[16:17], v[12:13], v[12:13]
	v_ldexp_f64 v[8:9], v[8:9], 1
	v_fma_f64 v[20:21], v[16:17], s[40:41], s[38:39]
	v_mul_f64 v[12:13], v[12:13], v[16:17]
	v_fma_f64 v[20:21], v[16:17], v[20:21], s[42:43]
	v_fma_f64 v[20:21], v[16:17], v[20:21], s[44:45]
	;; [unrolled: 1-line block ×5, first 2 shown]
	v_mul_f64 v[12:13], v[12:13], v[20:21]
	v_add_f64 v[16:17], v[28:29], v[12:13]
	v_add_f64 v[20:21], v[16:17], -v[28:29]
	v_add_f64 v[12:13], v[12:13], -v[20:21]
	v_add_f64 v[8:9], v[8:9], v[12:13]
	v_add_f64 v[12:13], v[16:17], v[8:9]
	v_add_f64 v[16:17], v[12:13], -v[16:17]
	v_add_f64 v[8:9], v[8:9], -v[16:17]
	v_cvt_f64_i32_e32 v[16:17], v48
	v_mul_f64 v[20:21], v[16:17], s[34:35]
	v_fma_f64 v[28:29], v[16:17], s[34:35], -v[20:21]
	v_fma_f64 v[16:17], v[16:17], s[52:53], v[28:29]
	v_add_f64 v[28:29], v[20:21], v[16:17]
	v_add_f64 v[20:21], v[28:29], -v[20:21]
	v_add_f64 v[16:17], v[16:17], -v[20:21]
	v_add_f64 v[20:21], v[28:29], v[12:13]
	v_add_f64 v[32:33], v[20:21], -v[28:29]
	v_add_f64 v[38:39], v[20:21], -v[32:33]
	;; [unrolled: 1-line block ×4, first 2 shown]
	v_add_f64 v[12:13], v[12:13], v[28:29]
	v_add_f64 v[28:29], v[16:17], v[8:9]
	v_add_f64 v[32:33], v[28:29], -v[16:17]
	v_add_f64 v[12:13], v[28:29], v[12:13]
	v_add_f64 v[38:39], v[28:29], -v[32:33]
	v_add_f64 v[8:9], v[8:9], -v[32:33]
	;; [unrolled: 1-line block ×3, first 2 shown]
	v_add_f64 v[8:9], v[8:9], v[16:17]
	v_add_f64 v[16:17], v[20:21], v[12:13]
	v_add_f64 v[20:21], v[16:17], -v[20:21]
	v_add_f64 v[12:13], v[12:13], -v[20:21]
	v_add_f64 v[8:9], v[8:9], v[12:13]
	s_clause 0x5
	buffer_load_dword v12, off, s[56:59], 0 offset:48
	buffer_load_dword v13, off, s[56:59], 0 offset:52
	;; [unrolled: 1-line block ×6, first 2 shown]
	v_add_f64 v[8:9], v[16:17], v[8:9]
	v_cndmask_b32_e32 v8, v8, v6, vcc_lo
	v_cndmask_b32_e32 v9, v9, v7, vcc_lo
	v_cmp_ngt_f64_e32 vcc_lo, 0, v[6:7]
	v_cndmask_b32_e32 v9, 0x7ff80000, v9, vcc_lo
	v_cmp_nge_f64_e32 vcc_lo, 0, v[6:7]
	v_cndmask_b32_e32 v8, 0, v8, vcc_lo
	v_cmp_neq_f64_e32 vcc_lo, 0, v[6:7]
	v_cndmask_b32_e32 v9, 0xfff00000, v9, vcc_lo
	v_mul_f64 v[6:7], v[68:69], v[8:9]
	v_div_scale_f64 v[8:9], null, v[18:19], v[18:19], v[6:7]
	s_waitcnt vmcnt(4)
	v_mul_f64 v[48:49], v[12:13], v[12:13]
	v_rcp_f64_e32 v[12:13], v[8:9]
	s_waitcnt vmcnt(2)
	v_mul_f64 v[114:115], v[48:49], v[98:99]
	v_fma_f64 v[16:17], -v[8:9], v[12:13], 1.0
	v_fma_f64 v[12:13], v[12:13], v[16:17], v[12:13]
	v_fma_f64 v[16:17], -v[8:9], v[12:13], 1.0
	v_fma_f64 v[12:13], v[12:13], v[16:17], v[12:13]
	v_div_scale_f64 v[16:17], vcc_lo, v[6:7], v[18:19], v[6:7]
	v_mul_f64 v[20:21], v[16:17], v[12:13]
	v_fma_f64 v[8:9], -v[8:9], v[20:21], v[16:17]
	v_div_fmas_f64 v[8:9], v[8:9], v[12:13], v[20:21]
	v_div_fixup_f64 v[6:7], v[8:9], v[18:19], v[6:7]
	v_add_f64 v[126:127], v[2:3], -v[6:7]
	v_mul_f64 v[6:7], v[24:25], s[0:1]
	v_fma_f64 v[6:7], v[2:3], s[0:1], -v[6:7]
	v_mul_f64 v[8:9], v[6:7], s[2:3]
	v_cmp_nlt_f64_e32 vcc_lo, 0x40900000, v[6:7]
	v_cmp_ngt_f64_e64 s0, 0xc090cc00, v[6:7]
	v_rndne_f64_e32 v[8:9], v[8:9]
	v_fma_f64 v[12:13], v[8:9], s[4:5], v[6:7]
	v_fma_f64 v[12:13], v[8:9], s[6:7], v[12:13]
	v_cvt_i32_f64_e32 v8, v[8:9]
	v_fma_f64 v[16:17], v[12:13], s[14:15], s[8:9]
	v_fma_f64 v[16:17], v[12:13], v[16:17], s[16:17]
	;; [unrolled: 1-line block ×9, first 2 shown]
	v_fma_f64 v[16:17], v[12:13], v[16:17], 1.0
	v_fma_f64 v[12:13], v[12:13], v[16:17], 1.0
	v_ldexp_f64 v[8:9], v[12:13], v8
	v_cndmask_b32_e32 v9, 0x7ff00000, v9, vcc_lo
	s_and_b32 vcc_lo, s0, vcc_lo
	v_cndmask_b32_e32 v12, 0, v8, vcc_lo
	v_cndmask_b32_e64 v13, 0, v9, s0
	s_mov_b32 s0, 0x3b43bc8b
	s_mov_b32 s1, 0x3ed9c54c
	v_fma_f64 v[16:17], v[12:13], s[0:1], 1.0
	s_mov_b32 s0, 0x9999999a
	s_mov_b32 s1, 0x3fb99999
	v_div_scale_f64 v[6:7], null, v[16:17], v[16:17], s[0:1]
	v_rcp_f64_e32 v[8:9], v[6:7]
	v_fma_f64 v[20:21], -v[6:7], v[8:9], 1.0
	v_fma_f64 v[8:9], v[8:9], v[20:21], v[8:9]
	v_fma_f64 v[20:21], -v[6:7], v[8:9], 1.0
	v_fma_f64 v[8:9], v[8:9], v[20:21], v[8:9]
	v_div_scale_f64 v[20:21], vcc_lo, s[0:1], v[16:17], s[0:1]
	v_mul_f64 v[28:29], v[20:21], v[8:9]
	v_fma_f64 v[6:7], -v[6:7], v[28:29], v[20:21]
	v_div_fmas_f64 v[6:7], v[6:7], v[8:9], v[28:29]
	v_div_fixup_f64 v[32:33], v[6:7], v[16:17], s[0:1]
	v_mul_f64 v[6:7], v[24:25], s[0:1]
	v_fma_f64 v[6:7], v[2:3], s[0:1], -v[6:7]
	v_mul_f64 v[8:9], v[6:7], s[2:3]
	v_cmp_nlt_f64_e32 vcc_lo, 0x40900000, v[6:7]
	v_cmp_ngt_f64_e64 s0, 0xc090cc00, v[6:7]
	v_rndne_f64_e32 v[8:9], v[8:9]
	v_fma_f64 v[20:21], v[8:9], s[4:5], v[6:7]
	v_fma_f64 v[20:21], v[8:9], s[6:7], v[20:21]
	v_cvt_i32_f64_e32 v8, v[8:9]
	v_fma_f64 v[28:29], v[20:21], s[14:15], s[8:9]
	v_fma_f64 v[28:29], v[20:21], v[28:29], s[16:17]
	v_fma_f64 v[28:29], v[20:21], v[28:29], s[18:19]
	v_fma_f64 v[28:29], v[20:21], v[28:29], s[20:21]
	v_fma_f64 v[28:29], v[20:21], v[28:29], s[22:23]
	v_fma_f64 v[28:29], v[20:21], v[28:29], s[24:25]
	v_fma_f64 v[28:29], v[20:21], v[28:29], s[26:27]
	v_fma_f64 v[28:29], v[20:21], v[28:29], s[28:29]
	v_fma_f64 v[28:29], v[20:21], v[28:29], s[30:31]
	v_fma_f64 v[28:29], v[20:21], v[28:29], 1.0
	v_fma_f64 v[20:21], v[20:21], v[28:29], 1.0
	v_ldexp_f64 v[8:9], v[20:21], v8
	v_cndmask_b32_e32 v9, 0x7ff00000, v9, vcc_lo
	s_and_b32 vcc_lo, s0, vcc_lo
	v_cndmask_b32_e32 v6, 0, v8, vcc_lo
	v_cndmask_b32_e64 v7, 0, v9, s0
	s_mov_b32 s0, 0xeb1c432d
	s_mov_b32 s1, 0x3f2a36e2
	v_mul_f64 v[8:9], v[24:25], s[0:1]
	v_fma_f64 v[8:9], v[2:3], s[0:1], -v[8:9]
	v_mul_f64 v[20:21], v[8:9], s[2:3]
	v_cmp_nlt_f64_e32 vcc_lo, 0x40900000, v[8:9]
	v_cmp_ngt_f64_e64 s0, 0xc090cc00, v[8:9]
	v_rndne_f64_e32 v[20:21], v[20:21]
	v_fma_f64 v[28:29], v[20:21], s[4:5], v[8:9]
	v_fma_f64 v[28:29], v[20:21], s[6:7], v[28:29]
	v_cvt_i32_f64_e32 v20, v[20:21]
	v_fma_f64 v[38:39], v[28:29], s[14:15], s[8:9]
	v_fma_f64 v[38:39], v[28:29], v[38:39], s[16:17]
	;; [unrolled: 1-line block ×9, first 2 shown]
	v_fma_f64 v[38:39], v[28:29], v[38:39], 1.0
	v_fma_f64 v[28:29], v[28:29], v[38:39], 1.0
	v_ldexp_f64 v[20:21], v[28:29], v20
	v_cndmask_b32_e32 v21, 0x7ff00000, v21, vcc_lo
	s_and_b32 vcc_lo, s0, vcc_lo
	v_cndmask_b32_e32 v124, 0, v20, vcc_lo
	v_cndmask_b32_e64 v125, 0, v21, s0
	v_mul_f64 v[20:21], v[2:3], 0.5
	s_mov_b32 s0, 0xf5e201d1
	s_mov_b32 s1, 0x40087c1d
	v_mul_f64 v[8:9], v[124:125], s[0:1]
	s_mov_b32 s0, 0x362cef32
	s_mov_b32 s1, 0x3fd78b56
	v_fma_f64 v[20:21], v[24:25], 0.5, -v[20:21]
	v_fma_f64 v[8:9], v[6:7], s[0:1], v[8:9]
	v_mul_f64 v[24:25], v[20:21], s[2:3]
	v_cmp_nlt_f64_e32 vcc_lo, 0x40900000, v[20:21]
	v_cmp_ngt_f64_e64 s0, 0xc090cc00, v[20:21]
	s_mov_b32 s2, 0x54aa4deb
	s_mov_b32 s3, 0x4025dfe9
	v_rndne_f64_e32 v[24:25], v[24:25]
	v_fma_f64 v[28:29], v[24:25], s[4:5], v[20:21]
	v_fma_f64 v[28:29], v[24:25], s[6:7], v[28:29]
	v_cvt_i32_f64_e32 v24, v[24:25]
	v_fma_f64 v[38:39], v[28:29], s[14:15], s[8:9]
	v_fma_f64 v[38:39], v[28:29], v[38:39], s[16:17]
	;; [unrolled: 1-line block ×9, first 2 shown]
	v_fma_f64 v[38:39], v[28:29], v[38:39], 1.0
	v_fma_f64 v[28:29], v[28:29], v[38:39], 1.0
	v_ldexp_f64 v[24:25], v[28:29], v24
	v_cndmask_b32_e32 v25, 0x7ff00000, v25, vcc_lo
	s_and_b32 vcc_lo, s0, vcc_lo
	v_cndmask_b32_e32 v72, 0, v24, vcc_lo
	v_cndmask_b32_e64 v73, 0, v25, s0
	s_mov_b32 s0, 0xf62f0be
	s_mov_b32 s1, 0x3fdb8a8d
	v_add_f64 v[62:63], v[72:73], 1.0
	v_div_scale_f64 v[20:21], null, v[62:63], v[62:63], v[8:9]
	v_rcp_f64_e32 v[24:25], v[20:21]
	v_fma_f64 v[28:29], -v[20:21], v[24:25], 1.0
	v_fma_f64 v[24:25], v[24:25], v[28:29], v[24:25]
	v_fma_f64 v[28:29], -v[20:21], v[24:25], 1.0
	v_fma_f64 v[24:25], v[24:25], v[28:29], v[24:25]
	v_div_scale_f64 v[28:29], vcc_lo, v[8:9], v[62:63], v[8:9]
	v_mul_f64 v[38:39], v[28:29], v[24:25]
	v_fma_f64 v[20:21], -v[20:21], v[38:39], v[28:29]
	v_div_fmas_f64 v[20:21], v[20:21], v[24:25], v[38:39]
	v_div_fixup_f64 v[20:21], v[20:21], v[62:63], v[8:9]
	v_mul_f64 v[8:9], v[8:9], 0.5
	v_add_f64 v[38:39], v[32:33], v[20:21]
	v_mul_f64 v[8:9], v[72:73], v[8:9]
	v_div_scale_f64 v[20:21], null, v[38:39], v[38:39], v[32:33]
	v_rcp_f64_e32 v[24:25], v[20:21]
	v_fma_f64 v[28:29], -v[20:21], v[24:25], 1.0
	v_fma_f64 v[24:25], v[24:25], v[28:29], v[24:25]
	v_fma_f64 v[28:29], -v[20:21], v[24:25], 1.0
	v_fma_f64 v[24:25], v[24:25], v[28:29], v[24:25]
	v_div_scale_f64 v[28:29], vcc_lo, v[32:33], v[38:39], v[32:33]
	v_mul_f64 v[70:71], v[28:29], v[24:25]
	v_fma_f64 v[20:21], -v[20:21], v[70:71], v[28:29]
	v_div_fmas_f64 v[20:21], v[20:21], v[24:25], v[70:71]
	v_cmp_gt_f64_e32 vcc_lo, 0x10000000, v[76:77]
	v_div_fixup_f64 v[70:71], v[20:21], v[38:39], v[32:33]
	v_cndmask_b32_e64 v24, 0, 0x100, vcc_lo
	s_waitcnt vmcnt(0)
	v_mul_f64 v[20:21], v[14:15], s[0:1]
	v_mov_b32_e32 v14, v90
	v_mov_b32_e32 v15, v91
	v_ldexp_f64 v[24:25], v[76:77], v24
	v_rsq_f64_e32 v[28:29], v[24:25]
	v_mul_f64 v[76:77], v[24:25], v[28:29]
	v_mul_f64 v[28:29], v[28:29], 0.5
	v_fma_f64 v[108:109], -v[28:29], v[76:77], 0.5
	v_fma_f64 v[76:77], v[76:77], v[108:109], v[76:77]
	v_fma_f64 v[28:29], v[28:29], v[108:109], v[28:29]
	v_fma_f64 v[90:91], -v[76:77], v[76:77], v[24:25]
	v_fma_f64 v[76:77], v[90:91], v[28:29], v[76:77]
	v_fma_f64 v[90:91], -v[76:77], v[76:77], v[24:25]
	v_fma_f64 v[28:29], v[90:91], v[28:29], v[76:77]
	v_cndmask_b32_e64 v76, 0, 0xffffff80, vcc_lo
	v_cmp_class_f64_e64 vcc_lo, v[24:25], 0x260
	v_ldexp_f64 v[28:29], v[28:29], v76
	v_cndmask_b32_e32 v25, v29, v25, vcc_lo
	v_cndmask_b32_e32 v24, v28, v24, vcc_lo
	v_mul_f64 v[28:29], v[20:21], v[24:25]
	s_clause 0x5
	buffer_load_dword v20, off, s[56:59], 0 offset:240
	buffer_load_dword v21, off, s[56:59], 0 offset:244
	;; [unrolled: 1-line block ×6, first 2 shown]
	v_mul_f64 v[76:77], v[28:29], v[46:47]
	s_waitcnt vmcnt(4)
	v_mul_f64 v[20:21], v[20:21], s[0:1]
	v_mul_f64 v[108:109], v[20:21], v[24:25]
	;; [unrolled: 1-line block ×3, first 2 shown]
	s_waitcnt vmcnt(2)
	v_mul_f64 v[24:25], v[40:41], v[20:21]
	v_add_f64 v[20:21], v[14:15], v[122:123]
	s_waitcnt vmcnt(0)
	global_store_dwordx2 v[90:91], v[20:21], off
	s_clause 0x1
	buffer_load_dword v42, off, s[56:59], 0 offset:232
	buffer_load_dword v43, off, s[56:59], 0 offset:236
	s_waitcnt vmcnt(0)
	v_div_scale_f64 v[20:21], null, v[42:43], v[42:43], s[10:11]
	v_rcp_f64_e32 v[90:91], v[20:21]
	v_fma_f64 v[122:123], -v[20:21], v[90:91], 1.0
	v_fma_f64 v[90:91], v[90:91], v[122:123], v[90:91]
	v_fma_f64 v[122:123], -v[20:21], v[90:91], 1.0
	v_fma_f64 v[90:91], v[90:91], v[122:123], v[90:91]
	v_div_scale_f64 v[122:123], vcc_lo, s[10:11], v[42:43], s[10:11]
	v_mul_f64 v[118:119], v[122:123], v[90:91]
	v_fma_f64 v[20:21], -v[20:21], v[118:119], v[122:123]
	v_div_fmas_f64 v[20:21], v[20:21], v[90:91], v[118:119]
	v_div_fixup_f64 v[20:21], v[20:21], v[42:43], s[10:11]
	v_floor_f64_e32 v[20:21], v[20:21]
	v_fma_f64 v[20:21], -v[42:43], v[20:21], s[10:11]
	s_clause 0x3
	buffer_load_dword v42, off, s[56:59], 0 offset:216
	buffer_load_dword v43, off, s[56:59], 0 offset:220
	;; [unrolled: 1-line block ×4, first 2 shown]
	s_waitcnt vmcnt(0)
	v_add_f64 v[90:91], v[42:43], v[80:81]
	s_clause 0x3
	buffer_load_dword v42, off, s[56:59], 0 offset:208
	buffer_load_dword v43, off, s[56:59], 0 offset:212
	;; [unrolled: 1-line block ×4, first 2 shown]
	v_cmp_nge_f64_e64 s0, v[20:21], v[80:81]
	v_cmp_nle_f64_e32 vcc_lo, v[20:21], v[90:91]
	s_or_b32 s0, vcc_lo, s0
	s_waitcnt vmcnt(3)
	v_cndmask_b32_e64 v122, v42, 0, s0
	s_waitcnt vmcnt(2)
	v_xor_b32_e32 v20, 0x80000000, v43
	v_cndmask_b32_e64 v123, v20, 0, s0
	v_fma_f64 v[20:21], -v[76:77], v[70:71], -v[120:121]
	v_mov_b32_e32 v121, v5
	v_mov_b32_e32 v120, v4
	s_mov_b32 s0, 0x85944719
	s_mov_b32 s1, 0x3e63cab9
	s_waitcnt vmcnt(0)
	v_fma_f64 v[20:21], -v[118:119], v[24:25], v[20:21]
	v_fma_f64 v[20:21], -v[114:115], v[126:127], v[20:21]
	v_add_f64 v[20:21], v[20:21], -v[30:31]
	v_add_f64 v[0:1], v[20:21], -v[0:1]
	s_clause 0x1
	buffer_load_dword v20, off, s[56:59], 0 offset:424
	buffer_load_dword v21, off, s[56:59], 0 offset:428
	v_add_f64 v[0:1], v[0:1], -v[102:103]
	v_add_f64 v[0:1], v[0:1], -v[122:123]
	s_waitcnt vmcnt(0)
	v_add_f64 v[0:1], v[0:1], -v[20:21]
	s_clause 0x3
	buffer_load_dword v20, off, s[56:59], 0 offset:432
	buffer_load_dword v21, off, s[56:59], 0 offset:436
	;; [unrolled: 1-line block ×4, first 2 shown]
	v_add_f64 v[0:1], v[0:1], -v[112:113]
	s_waitcnt vmcnt(2)
	v_add_f64 v[0:1], v[0:1], -v[20:21]
	v_add_f64 v[0:1], v[0:1], -v[88:89]
	v_fma_f64 v[4:5], -v[120:121], v[92:93], v[0:1]
	v_mul_f64 v[0:1], v[12:13], s[0:1]
	v_mul_f64 v[12:13], v[16:17], v[16:17]
	v_div_scale_f64 v[16:17], null, v[12:13], v[12:13], v[0:1]
	v_rcp_f64_e32 v[20:21], v[16:17]
	v_fma_f64 v[30:31], -v[16:17], v[20:21], 1.0
	v_fma_f64 v[20:21], v[20:21], v[30:31], v[20:21]
	v_fma_f64 v[30:31], -v[16:17], v[20:21], 1.0
	v_fma_f64 v[20:21], v[20:21], v[30:31], v[20:21]
	v_div_scale_f64 v[30:31], vcc_lo, v[0:1], v[12:13], v[0:1]
	v_mul_f64 v[90:91], v[30:31], v[20:21]
	v_fma_f64 v[16:17], -v[16:17], v[90:91], v[30:31]
	v_div_fmas_f64 v[16:17], v[16:17], v[20:21], v[90:91]
	v_div_fixup_f64 v[0:1], v[16:17], v[12:13], v[0:1]
	v_mul_f64 v[12:13], v[50:51], v[116:117]
	s_clause 0x3
	buffer_load_dword v116, off, s[56:59], 0 offset:112
	buffer_load_dword v117, off, s[56:59], 0 offset:116
	;; [unrolled: 1-line block ×4, first 2 shown]
	s_waitcnt vmcnt(4)
	v_mul_f64 v[12:13], v[42:43], v[12:13]
	s_waitcnt vmcnt(2)
	v_mul_f64 v[12:13], v[116:117], v[12:13]
	;; [unrolled: 2-line block ×3, first 2 shown]
	v_div_scale_f64 v[16:17], null, v[94:95], v[94:95], v[12:13]
	v_rcp_f64_e32 v[20:21], v[16:17]
	v_fma_f64 v[30:31], -v[16:17], v[20:21], 1.0
	v_fma_f64 v[20:21], v[20:21], v[30:31], v[20:21]
	v_fma_f64 v[30:31], -v[16:17], v[20:21], 1.0
	v_fma_f64 v[20:21], v[20:21], v[30:31], v[20:21]
	v_div_scale_f64 v[30:31], vcc_lo, v[12:13], v[94:95], v[12:13]
	v_mul_f64 v[90:91], v[30:31], v[20:21]
	v_fma_f64 v[16:17], -v[16:17], v[90:91], v[30:31]
	s_clause 0x1
	buffer_load_dword v30, off, s[56:59], 0 offset:32
	buffer_load_dword v31, off, s[56:59], 0 offset:36
	v_div_fmas_f64 v[16:17], v[16:17], v[20:21], v[90:91]
	v_mul_f64 v[20:21], v[18:19], v[34:35]
	s_clause 0x1
	buffer_load_dword v34, off, s[56:59], 0 offset:40
	buffer_load_dword v35, off, s[56:59], 0 offset:44
	v_div_fixup_f64 v[12:13], v[16:17], v[94:95], v[12:13]
	v_ldexp_f64 v[16:17], v[54:55], 3
	v_mul_f64 v[16:17], v[16:17], v[20:21]
	v_mul_f64 v[16:17], v[16:17], v[66:67]
	;; [unrolled: 1-line block ×8, first 2 shown]
	s_waitcnt vmcnt(2)
	v_mul_f64 v[30:31], v[30:31], v[30:31]
	s_waitcnt vmcnt(0)
	v_mul_f64 v[34:35], v[34:35], v[34:35]
	v_mul_f64 v[30:31], v[30:31], v[34:35]
	;; [unrolled: 1-line block ×4, first 2 shown]
	v_div_scale_f64 v[66:67], null, v[34:35], v[34:35], v[16:17]
	v_rcp_f64_e32 v[90:91], v[66:67]
	v_fma_f64 v[94:95], -v[66:67], v[90:91], 1.0
	v_fma_f64 v[90:91], v[90:91], v[94:95], v[90:91]
	v_fma_f64 v[94:95], -v[66:67], v[90:91], 1.0
	v_fma_f64 v[90:91], v[90:91], v[94:95], v[90:91]
	v_div_scale_f64 v[94:95], vcc_lo, v[16:17], v[34:35], v[16:17]
	v_mul_f64 v[112:113], v[94:95], v[90:91]
	v_fma_f64 v[66:67], -v[66:67], v[112:113], v[94:95]
	v_div_fmas_f64 v[66:67], v[66:67], v[90:91], v[112:113]
	v_mov_b32_e32 v90, v120
	v_mov_b32_e32 v91, v121
	v_div_fixup_f64 v[16:17], v[66:67], v[34:35], v[16:17]
	v_add_f64 v[12:13], v[12:13], -v[16:17]
	v_add_f64 v[16:17], v[54:55], v[54:55]
	v_mul_f64 v[16:17], v[16:17], v[20:21]
	v_mul_f64 v[20:21], v[30:31], v[64:65]
	v_mul_f64 v[16:17], v[58:59], v[16:17]
	v_mul_f64 v[16:17], v[22:23], v[16:17]
	v_mul_f64 v[16:17], v[50:51], v[16:17]
	v_mul_f64 v[16:17], v[16:17], v[44:45]
	v_mul_f64 v[16:17], v[42:43], v[16:17]
	v_mul_f64 v[16:17], v[116:117], v[16:17]
	v_mul_f64 v[16:17], v[80:81], v[16:17]
	v_div_scale_f64 v[22:23], null, v[20:21], v[20:21], v[16:17]
	v_rcp_f64_e32 v[30:31], v[22:23]
	v_fma_f64 v[34:35], -v[22:23], v[30:31], 1.0
	v_fma_f64 v[30:31], v[30:31], v[34:35], v[30:31]
	v_fma_f64 v[34:35], -v[22:23], v[30:31], 1.0
	v_fma_f64 v[30:31], v[30:31], v[34:35], v[30:31]
	v_div_scale_f64 v[34:35], vcc_lo, v[16:17], v[20:21], v[16:17]
	v_mul_f64 v[44:45], v[34:35], v[30:31]
	v_fma_f64 v[22:23], -v[22:23], v[44:45], v[34:35]
	v_div_fmas_f64 v[22:23], v[22:23], v[30:31], v[44:45]
	v_div_fixup_f64 v[16:17], v[22:23], v[20:21], v[16:17]
	v_add_f64 v[50:51], v[16:17], v[12:13]
	v_div_scale_f64 v[12:13], null, v[26:27], v[26:27], v[52:53]
	v_rcp_f64_e32 v[16:17], v[12:13]
	v_fma_f64 v[20:21], -v[12:13], v[16:17], 1.0
	v_fma_f64 v[16:17], v[16:17], v[20:21], v[16:17]
	v_fma_f64 v[20:21], -v[12:13], v[16:17], 1.0
	v_fma_f64 v[22:23], v[16:17], v[20:21], v[16:17]
	v_div_scale_f64 v[16:17], s0, v[52:53], v[26:27], v[52:53]
	v_mul_f64 v[20:21], v[26:27], v[26:27]
	s_mov_b32 vcc_lo, s0
	v_mul_f64 v[30:31], v[16:17], v[22:23]
	v_fma_f64 v[34:35], -v[12:13], v[30:31], v[16:17]
	v_mul_f64 v[16:17], v[52:53], s[2:3]
	s_mov_b32 s2, 0x91bd8c28
	s_mov_b32 s3, 0x3fa2d5de
	v_div_fmas_f64 v[12:13], v[34:35], v[22:23], v[30:31]
	v_mul_f64 v[16:17], v[16:17], v[46:47]
	v_div_fixup_f64 v[12:13], v[12:13], v[26:27], v[52:53]
	v_mul_f64 v[16:17], v[60:61], v[16:17]
	v_div_scale_f64 v[44:45], null, v[20:21], v[20:21], v[16:17]
	v_rcp_f64_e32 v[46:47], v[44:45]
	v_fma_f64 v[52:53], -v[44:45], v[46:47], 1.0
	v_fma_f64 v[46:47], v[46:47], v[52:53], v[46:47]
	v_fma_f64 v[52:53], -v[44:45], v[46:47], 1.0
	v_fma_f64 v[46:47], v[46:47], v[52:53], v[46:47]
	v_div_scale_f64 v[52:53], vcc_lo, v[16:17], v[20:21], v[16:17]
	v_mul_f64 v[54:55], v[52:53], v[46:47]
	v_fma_f64 v[44:45], -v[44:45], v[54:55], v[52:53]
	v_div_fmas_f64 v[44:45], v[44:45], v[46:47], v[54:55]
	v_div_fixup_f64 v[16:17], v[44:45], v[20:21], v[16:17]
	v_mul_f64 v[20:21], v[38:39], v[38:39]
	v_add_f64 v[52:53], v[12:13], v[16:17]
	v_div_scale_f64 v[16:17], null, v[20:21], v[20:21], -v[32:33]
	v_mul_f64 v[12:13], v[96:97], v[56:57]
	v_rcp_f64_e32 v[44:45], v[16:17]
	v_fma_f64 v[46:47], -v[16:17], v[44:45], 1.0
	v_fma_f64 v[44:45], v[44:45], v[46:47], v[44:45]
	v_fma_f64 v[46:47], -v[16:17], v[44:45], 1.0
	v_fma_f64 v[44:45], v[44:45], v[46:47], v[44:45]
	v_div_scale_f64 v[46:47], vcc_lo, -v[32:33], v[20:21], -v[32:33]
	v_mul_f64 v[54:55], v[46:47], v[44:45]
	v_fma_f64 v[16:17], -v[16:17], v[54:55], v[46:47]
	v_div_fmas_f64 v[16:17], v[16:17], v[44:45], v[54:55]
	v_div_scale_f64 v[44:45], null, v[38:39], v[38:39], 1.0
	v_div_fixup_f64 v[16:17], v[16:17], v[20:21], -v[32:33]
	v_rcp_f64_e32 v[46:47], v[44:45]
	v_fma_f64 v[54:55], -v[44:45], v[46:47], 1.0
	v_fma_f64 v[46:47], v[46:47], v[54:55], v[46:47]
	v_fma_f64 v[54:55], -v[44:45], v[46:47], 1.0
	v_fma_f64 v[46:47], v[46:47], v[54:55], v[46:47]
	v_div_scale_f64 v[54:55], vcc_lo, 1.0, v[38:39], 1.0
	v_mul_f64 v[56:57], v[54:55], v[46:47]
	v_fma_f64 v[44:45], -v[44:45], v[56:57], v[54:55]
	v_div_fmas_f64 v[44:45], v[44:45], v[46:47], v[56:57]
	v_div_fixup_f64 v[38:39], v[44:45], v[38:39], 1.0
	v_div_scale_f64 v[44:45], null, v[20:21], v[20:21], v[32:33]
	v_rcp_f64_e32 v[46:47], v[44:45]
	v_fma_f64 v[54:55], -v[44:45], v[46:47], 1.0
	v_fma_f64 v[46:47], v[46:47], v[54:55], v[46:47]
	v_fma_f64 v[54:55], -v[44:45], v[46:47], 1.0
	v_fma_f64 v[46:47], v[46:47], v[54:55], v[46:47]
	v_div_scale_f64 v[54:55], vcc_lo, v[32:33], v[20:21], v[32:33]
	v_mul_f64 v[56:57], v[54:55], v[46:47]
	v_fma_f64 v[44:45], -v[44:45], v[56:57], v[54:55]
	v_div_fmas_f64 v[44:45], v[44:45], v[46:47], v[56:57]
	v_mul_f64 v[46:47], v[6:7], s[2:3]
	s_mov_b32 s2, 0x6acf4366
	s_mov_b32 s3, 0x3f440ed7
	v_div_fixup_f64 v[20:21], v[44:45], v[20:21], v[32:33]
	v_fma_f64 v[6:7], v[124:125], s[2:3], v[46:47]
	s_mov_b32 s2, 0x7318fc50
	s_mov_b32 s3, 0x3fa212d7
	v_add_f64 v[32:33], v[38:39], -v[20:21]
	v_div_scale_f64 v[20:21], null, v[62:63], v[62:63], v[6:7]
	v_rcp_f64_e32 v[38:39], v[20:21]
	v_fma_f64 v[44:45], -v[20:21], v[38:39], 1.0
	v_fma_f64 v[38:39], v[38:39], v[44:45], v[38:39]
	v_fma_f64 v[44:45], -v[20:21], v[38:39], 1.0
	v_fma_f64 v[38:39], v[38:39], v[44:45], v[38:39]
	v_div_scale_f64 v[44:45], vcc_lo, v[6:7], v[62:63], v[6:7]
	v_mul_f64 v[54:55], v[44:45], v[38:39]
	v_fma_f64 v[20:21], -v[20:21], v[54:55], v[44:45]
	v_div_fmas_f64 v[20:21], v[20:21], v[38:39], v[54:55]
	v_div_fixup_f64 v[6:7], v[20:21], v[62:63], v[6:7]
	v_mul_f64 v[20:21], v[62:63], v[62:63]
	v_div_scale_f64 v[38:39], null, v[20:21], v[20:21], v[8:9]
	v_rcp_f64_e32 v[44:45], v[38:39]
	v_fma_f64 v[54:55], -v[38:39], v[44:45], 1.0
	v_fma_f64 v[44:45], v[44:45], v[54:55], v[44:45]
	v_fma_f64 v[54:55], -v[38:39], v[44:45], 1.0
	v_fma_f64 v[44:45], v[44:45], v[54:55], v[44:45]
	v_div_scale_f64 v[54:55], vcc_lo, v[8:9], v[20:21], v[8:9]
	v_mul_f64 v[56:57], v[54:55], v[44:45]
	v_fma_f64 v[38:39], -v[38:39], v[56:57], v[54:55]
	v_div_fmas_f64 v[38:39], v[38:39], v[44:45], v[56:57]
	v_div_fixup_f64 v[44:45], v[38:39], v[20:21], v[8:9]
	v_mul_f64 v[8:9], v[0:1], v[32:33]
	v_cndmask_b32_e64 v39, 0x3ff00000, 0, s33
	v_mov_b32_e32 v38, 0
	v_add_f64 v[20:21], v[6:7], v[44:45]
	v_mul_f64 v[6:7], v[28:29], v[70:71]
	v_mul_f64 v[28:29], v[40:41], v[108:109]
	v_fma_f64 v[54:55], v[20:21], v[16:17], -v[8:9]
	v_mul_f64 v[20:21], v[18:19], s[2:3]
	s_mov_b32 s2, 0xb6ae7d56
	s_mov_b32 s3, 0x3f897f62
	v_fma_f64 v[56:57], v[76:77], v[54:55], v[6:7]
	v_mul_f64 v[20:21], v[20:21], v[104:105]
	v_div_scale_f64 v[58:59], null, v[68:69], v[68:69], v[20:21]
	v_rcp_f64_e32 v[60:61], v[58:59]
	v_fma_f64 v[64:65], -v[58:59], v[60:61], 1.0
	v_fma_f64 v[60:61], v[60:61], v[64:65], v[60:61]
	v_fma_f64 v[64:65], -v[58:59], v[60:61], 1.0
	v_fma_f64 v[60:61], v[60:61], v[64:65], v[60:61]
	v_div_scale_f64 v[64:65], vcc_lo, v[20:21], v[68:69], v[20:21]
	v_mul_f64 v[66:67], v[64:65], v[60:61]
	v_fma_f64 v[58:59], -v[58:59], v[66:67], v[64:65]
	v_div_fmas_f64 v[58:59], v[58:59], v[60:61], v[66:67]
	v_div_fixup_f64 v[20:21], v[58:59], v[68:69], v[20:21]
	v_mul_f64 v[58:59], v[18:19], s[2:3]
	s_mov_b32 s2, 0xe2308c3a
	s_mov_b32 s3, 0x3e45798e
	v_mul_f64 v[58:59], v[58:59], v[106:107]
	v_div_scale_f64 v[60:61], null, v[68:69], v[68:69], v[58:59]
	v_rcp_f64_e32 v[64:65], v[60:61]
	v_fma_f64 v[66:67], -v[60:61], v[64:65], 1.0
	v_fma_f64 v[64:65], v[64:65], v[66:67], v[64:65]
	v_fma_f64 v[66:67], -v[60:61], v[64:65], 1.0
	v_fma_f64 v[64:65], v[64:65], v[66:67], v[64:65]
	v_div_scale_f64 v[66:67], vcc_lo, v[58:59], v[68:69], v[58:59]
	v_mul_f64 v[72:73], v[66:67], v[64:65]
	v_fma_f64 v[60:61], -v[60:61], v[72:73], v[66:67]
	v_div_fmas_f64 v[60:61], v[60:61], v[64:65], v[72:73]
	v_div_fixup_f64 v[58:59], v[60:61], v[68:69], v[58:59]
	v_add_f64 v[20:21], v[20:21], v[58:59]
	v_mul_f64 v[58:59], v[110:111], v[110:111]
	v_mul_f64 v[20:21], v[100:101], v[20:21]
	;; [unrolled: 1-line block ×4, first 2 shown]
	s_clause 0x1
	buffer_load_dword v14, off, s[56:59], 0 offset:104
	buffer_load_dword v15, off, s[56:59], 0 offset:108
	v_div_scale_f64 v[58:59], null, v[10:11], v[10:11], v[20:21]
	v_rcp_f64_e32 v[60:61], v[58:59]
	v_fma_f64 v[64:65], -v[58:59], v[60:61], 1.0
	v_fma_f64 v[60:61], v[60:61], v[64:65], v[60:61]
	v_fma_f64 v[64:65], -v[58:59], v[60:61], 1.0
	v_fma_f64 v[60:61], v[60:61], v[64:65], v[60:61]
	v_div_scale_f64 v[64:65], vcc_lo, v[20:21], v[10:11], v[20:21]
	v_mul_f64 v[66:67], v[64:65], v[60:61]
	v_fma_f64 v[58:59], -v[58:59], v[66:67], v[64:65]
	v_div_fmas_f64 v[58:59], v[58:59], v[60:61], v[66:67]
	v_div_fixup_f64 v[10:11], v[58:59], v[10:11], v[20:21]
	s_waitcnt vmcnt(0)
	v_mul_f64 v[20:21], v[14:15], v[18:19]
	s_clause 0x1
	buffer_load_dword v14, off, s[56:59], 0 offset:184
	buffer_load_dword v15, off, s[56:59], 0 offset:188
	s_waitcnt vmcnt(0)
	v_mul_f64 v[20:21], v[14:15], v[20:21]
	s_clause 0x1
	buffer_load_dword v14, off, s[56:59], 0 offset:384
	buffer_load_dword v15, off, s[56:59], 0 offset:388
	;; [unrolled: 5-line block ×4, first 2 shown]
	v_div_scale_f64 v[40:41], null, v[68:69], v[68:69], v[20:21]
	v_rcp_f64_e32 v[58:59], v[40:41]
	v_fma_f64 v[60:61], -v[40:41], v[58:59], 1.0
	v_fma_f64 v[58:59], v[58:59], v[60:61], v[58:59]
	v_fma_f64 v[60:61], -v[40:41], v[58:59], 1.0
	v_fma_f64 v[58:59], v[58:59], v[60:61], v[58:59]
	v_div_scale_f64 v[60:61], vcc_lo, v[20:21], v[68:69], v[20:21]
	v_mul_f64 v[64:65], v[60:61], v[58:59]
	v_fma_f64 v[40:41], -v[40:41], v[64:65], v[60:61]
	v_div_fmas_f64 v[40:41], v[40:41], v[58:59], v[64:65]
	v_div_fixup_f64 v[20:21], v[40:41], v[68:69], v[20:21]
	s_waitcnt vmcnt(0)
	v_mul_f64 v[40:41], v[14:15], v[18:19]
	s_clause 0x3
	buffer_load_dword v14, off, s[56:59], 0 offset:352
	buffer_load_dword v15, off, s[56:59], 0 offset:356
	buffer_load_dword v66, off, s[56:59], 0 offset:392
	buffer_load_dword v67, off, s[56:59], 0 offset:396
	s_waitcnt vmcnt(2)
	v_mul_f64 v[40:41], v[14:15], v[40:41]
	s_clause 0x1
	buffer_load_dword v14, off, s[56:59], 0 offset:200
	buffer_load_dword v15, off, s[56:59], 0 offset:204
	s_waitcnt vmcnt(2)
	v_mul_f64 v[40:41], v[66:67], v[40:41]
	s_waitcnt vmcnt(0)
	v_mul_f64 v[40:41], v[14:15], v[40:41]
	s_clause 0x1
	buffer_load_dword v14, off, s[56:59], 0 offset:24
	buffer_load_dword v15, off, s[56:59], 0 offset:28
	v_mul_f64 v[40:41], v[40:41], v[36:37]
	v_div_scale_f64 v[42:43], null, v[68:69], v[68:69], v[40:41]
	v_rcp_f64_e32 v[58:59], v[42:43]
	v_fma_f64 v[60:61], -v[42:43], v[58:59], 1.0
	v_fma_f64 v[58:59], v[58:59], v[60:61], v[58:59]
	v_fma_f64 v[60:61], -v[42:43], v[58:59], 1.0
	v_fma_f64 v[58:59], v[58:59], v[60:61], v[58:59]
	v_div_scale_f64 v[60:61], vcc_lo, v[40:41], v[68:69], v[40:41]
	v_mul_f64 v[64:65], v[60:61], v[58:59]
	v_fma_f64 v[42:43], -v[42:43], v[64:65], v[60:61]
	v_div_fmas_f64 v[42:43], v[42:43], v[58:59], v[64:65]
	v_div_fixup_f64 v[40:41], v[42:43], v[68:69], v[40:41]
	v_add_f64 v[20:21], v[20:21], -v[40:41]
	s_waitcnt vmcnt(0)
	v_mul_f64 v[20:21], v[14:15], v[20:21]
	v_div_scale_f64 v[40:41], null, v[78:79], v[78:79], v[20:21]
	v_rcp_f64_e32 v[42:43], v[40:41]
	v_fma_f64 v[58:59], -v[40:41], v[42:43], 1.0
	v_fma_f64 v[42:43], v[42:43], v[58:59], v[42:43]
	v_fma_f64 v[58:59], -v[40:41], v[42:43], 1.0
	v_fma_f64 v[42:43], v[42:43], v[58:59], v[42:43]
	v_div_scale_f64 v[58:59], vcc_lo, v[20:21], v[78:79], v[20:21]
	v_mul_f64 v[60:61], v[58:59], v[42:43]
	v_fma_f64 v[40:41], -v[40:41], v[60:61], v[58:59]
	v_div_fmas_f64 v[40:41], v[40:41], v[42:43], v[60:61]
	v_div_fixup_f64 v[20:21], v[40:41], v[78:79], v[20:21]
	v_mul_f64 v[40:41], v[14:15], v[18:19]
	s_clause 0x1
	buffer_load_dword v14, off, s[56:59], 0 offset:176
	buffer_load_dword v15, off, s[56:59], 0 offset:180
	s_waitcnt vmcnt(0)
	v_mul_f64 v[40:41], v[14:15], v[40:41]
	s_clause 0x1
	buffer_load_dword v14, off, s[56:59], 0 offset:408
	buffer_load_dword v15, off, s[56:59], 0 offset:412
	v_mul_f64 v[40:41], v[66:67], v[40:41]
	s_waitcnt vmcnt(0)
	v_mul_f64 v[40:41], v[40:41], v[14:15]
	s_clause 0x1
	buffer_load_dword v14, off, s[56:59], 0 offset:400
	buffer_load_dword v15, off, s[56:59], 0 offset:404
	v_mul_f64 v[36:37], v[36:37], v[40:41]
	;; [unrolled: 6-line block ×3, first 2 shown]
	s_waitcnt vmcnt(0)
	v_mul_f64 v[40:41], v[14:15], v[40:41]
	s_clause 0x1
	buffer_load_dword v14, off, s[56:59], 0 offset:416
	buffer_load_dword v15, off, s[56:59], 0 offset:420
	s_waitcnt vmcnt(0)
	v_mul_f64 v[40:41], v[14:15], v[40:41]
	v_div_scale_f64 v[42:43], null, v[40:41], v[40:41], v[36:37]
	v_rcp_f64_e32 v[58:59], v[42:43]
	v_fma_f64 v[60:61], -v[42:43], v[58:59], 1.0
	v_fma_f64 v[58:59], v[58:59], v[60:61], v[58:59]
	v_fma_f64 v[60:61], -v[42:43], v[58:59], 1.0
	v_fma_f64 v[58:59], v[58:59], v[60:61], v[58:59]
	v_div_scale_f64 v[60:61], vcc_lo, v[36:37], v[40:41], v[36:37]
	v_mul_f64 v[64:65], v[60:61], v[58:59]
	v_fma_f64 v[42:43], -v[42:43], v[64:65], v[60:61]
	v_div_fmas_f64 v[42:43], v[42:43], v[58:59], v[64:65]
	v_div_fixup_f64 v[36:37], v[42:43], v[40:41], v[36:37]
	v_add_f64 v[20:21], v[20:21], -v[36:37]
	s_clause 0x3
	buffer_load_dword v14, off, s[56:59], 0 offset:16
	buffer_load_dword v15, off, s[56:59], 0 offset:20
	;; [unrolled: 1-line block ×4, first 2 shown]
	s_waitcnt vmcnt(0)
	v_add_f64 v[36:37], -v[36:37], -v[14:15]
	s_clause 0x1
	buffer_load_dword v14, off, s[56:59], 0 offset:56
	buffer_load_dword v15, off, s[56:59], 0 offset:60
	v_add_f64 v[36:37], v[36:37], -v[56:57]
	v_fma_f64 v[36:37], -v[118:119], v[28:29], v[36:37]
	v_fma_f64 v[36:37], -v[48:49], v[98:99], v[36:37]
	v_add_f64 v[20:21], v[36:37], -v[20:21]
                                        ; implicit-def: $vgpr36_vgpr37
	v_add_f64 v[10:11], v[20:21], -v[10:11]
	s_waitcnt vmcnt(0)
	v_fma_f64 v[10:11], -v[14:15], v[74:75], v[10:11]
	v_add_f64 v[10:11], v[10:11], -v[52:53]
	v_fma_f64 v[10:11], -v[90:91], v[12:13], v[10:11]
	v_fma_f64 v[10:11], -v[76:77], v[54:55], v[10:11]
	v_fma_f64 v[20:21], -v[38:39], v[50:51], v[10:11]
	v_cmp_ngt_f64_e64 s1, |v[20:21]|, s[2:3]
	s_and_saveexec_b32 s2, s1
	s_xor_b32 s1, exec_lo, s2
; %bb.78:
	v_mul_f64 v[36:37], s[12:13], v[4:5]
                                        ; implicit-def: $vgpr20_vgpr21
                                        ; implicit-def: $vgpr4_vgpr5
; %bb.79:
	s_or_saveexec_b32 s2, s1
	v_mul_f64 v[38:39], v[90:91], v[92:93]
	v_mul_f64 v[40:41], v[114:115], v[126:127]
	;; [unrolled: 1-line block ×5, first 2 shown]
	s_xor_b32 exec_lo, exec_lo, s2
	s_cbranch_execz .LBB0_81
; %bb.80:
	v_mul_f64 v[28:29], s[12:13], v[20:21]
	s_mov_b32 s4, 0x652b82fe
	s_mov_b32 s5, 0x3ff71547
	;; [unrolled: 1-line block ×4, first 2 shown]
	v_mul_f64 v[36:37], v[28:29], s[4:5]
	s_mov_b32 s4, 0xfefa39ef
	s_mov_b32 s5, 0xbfe62e42
	v_cmp_nlt_f64_e32 vcc_lo, 0x40900000, v[28:29]
	v_cmp_ngt_f64_e64 s1, 0xc090cc00, v[28:29]
	v_rndne_f64_e32 v[36:37], v[36:37]
	v_fma_f64 v[48:49], v[36:37], s[4:5], v[28:29]
	s_mov_b32 s4, 0x3b39803f
	s_mov_b32 s5, 0xbc7abc9e
	v_cvt_i32_f64_e32 v52, v[36:37]
	v_fma_f64 v[48:49], v[36:37], s[4:5], v[48:49]
	s_mov_b32 s4, 0xfca7ab0c
	s_mov_b32 s5, 0x3e928af3
	v_fma_f64 v[50:51], v[48:49], s[6:7], s[4:5]
	s_mov_b32 s4, 0x623fde64
	s_mov_b32 s5, 0x3ec71dee
	;; [unrolled: 3-line block ×9, first 2 shown]
	v_fma_f64 v[50:51], v[48:49], v[50:51], s[4:5]
	v_fma_f64 v[50:51], v[48:49], v[50:51], 1.0
	v_fma_f64 v[36:37], v[48:49], v[50:51], 1.0
	v_ldexp_f64 v[36:37], v[36:37], v52
	v_add_f64 v[36:37], v[36:37], -1.0
	v_cndmask_b32_e32 v37, 0x7ff00000, v37, vcc_lo
	s_and_b32 vcc_lo, s1, vcc_lo
	v_cndmask_b32_e32 v28, 0, v36, vcc_lo
	v_cndmask_b32_e64 v29, 0xbff00000, v37, s1
	v_mul_f64 v[4:5], v[4:5], v[28:29]
	v_div_scale_f64 v[28:29], null, v[20:21], v[20:21], v[4:5]
	v_rcp_f64_e32 v[36:37], v[28:29]
	v_fma_f64 v[48:49], -v[28:29], v[36:37], 1.0
	v_fma_f64 v[36:37], v[36:37], v[48:49], v[36:37]
	v_fma_f64 v[48:49], -v[28:29], v[36:37], 1.0
	v_fma_f64 v[36:37], v[36:37], v[48:49], v[36:37]
	v_div_scale_f64 v[48:49], vcc_lo, v[4:5], v[20:21], v[4:5]
	v_mul_f64 v[50:51], v[48:49], v[36:37]
	v_fma_f64 v[28:29], -v[28:29], v[50:51], v[48:49]
	v_div_fmas_f64 v[28:29], v[28:29], v[36:37], v[50:51]
	v_div_fixup_f64 v[36:37], v[28:29], v[20:21], v[4:5]
.LBB0_81:
	s_or_b32 exec_lo, exec_lo, s2
	s_clause 0x3
	buffer_load_dword v14, off, s[56:59], 0
	buffer_load_dword v15, off, s[56:59], 0 offset:4
	buffer_load_dword v28, off, s[56:59], 0 offset:8
	;; [unrolled: 1-line block ×3, first 2 shown]
	v_add_f64 v[4:5], -v[42:43], -v[24:25]
	s_mov_b32 s2, 0x6acf4366
	v_mul_f64 v[20:21], v[82:83], v[18:19]
	s_mov_b32 s3, 0xbf440ed7
	v_fma_f64 v[24:25], v[124:125], s[2:3], -v[46:47]
	v_add_f64 v[4:5], v[4:5], -v[40:41]
	v_div_scale_f64 v[40:41], null, v[62:63], v[62:63], v[24:25]
	v_add_f64 v[4:5], v[4:5], -v[122:123]
	v_rcp_f64_e32 v[50:51], v[40:41]
	v_add_f64 v[4:5], v[4:5], -v[88:89]
	v_fma_f64 v[58:59], -v[40:41], v[50:51], 1.0
	v_add_f64 v[4:5], v[4:5], -v[38:39]
	v_div_scale_f64 v[38:39], null, v[20:21], v[20:21], v[86:87]
	v_fma_f64 v[50:51], v[50:51], v[58:59], v[50:51]
	v_fma_f64 v[4:5], v[102:103], 2.0, v[4:5]
	v_rcp_f64_e32 v[48:49], v[38:39]
	v_fma_f64 v[58:59], -v[40:41], v[50:51], 1.0
	v_fma_f64 v[56:57], -v[38:39], v[48:49], 1.0
	v_fma_f64 v[50:51], v[50:51], v[58:59], v[50:51]
	v_fma_f64 v[48:49], v[48:49], v[56:57], v[48:49]
	v_fma_f64 v[56:57], -v[38:39], v[48:49], 1.0
	v_fma_f64 v[48:49], v[48:49], v[56:57], v[48:49]
	v_div_scale_f64 v[56:57], s2, v[24:25], v[62:63], v[24:25]
	v_mul_f64 v[68:69], v[56:57], v[50:51]
	v_fma_f64 v[40:41], -v[40:41], v[68:69], v[56:57]
	s_waitcnt vmcnt(2)
	v_mul_f64 v[4:5], v[14:15], v[4:5]
	s_waitcnt vmcnt(0)
	v_mul_f64 v[18:19], v[28:29], v[18:19]
	v_div_scale_f64 v[28:29], null, v[84:85], v[84:85], v[4:5]
	v_div_scale_f64 v[42:43], null, v[18:19], v[18:19], v[86:87]
	v_div_scale_f64 v[64:65], vcc_lo, v[4:5], v[84:85], v[4:5]
	v_div_scale_f64 v[58:59], s3, v[86:87], v[18:19], v[86:87]
	v_rcp_f64_e32 v[46:47], v[28:29]
	v_rcp_f64_e32 v[52:53], v[42:43]
	v_fma_f64 v[54:55], -v[28:29], v[46:47], 1.0
	v_fma_f64 v[60:61], -v[42:43], v[52:53], 1.0
	v_fma_f64 v[46:47], v[46:47], v[54:55], v[46:47]
	v_fma_f64 v[52:53], v[52:53], v[60:61], v[52:53]
	v_fma_f64 v[54:55], -v[28:29], v[46:47], 1.0
	v_fma_f64 v[60:61], -v[42:43], v[52:53], 1.0
	v_fma_f64 v[46:47], v[46:47], v[54:55], v[46:47]
	v_div_scale_f64 v[54:55], s1, v[86:87], v[20:21], v[86:87]
	v_fma_f64 v[52:53], v[52:53], v[60:61], v[52:53]
	v_mul_f64 v[60:61], v[64:65], v[46:47]
	v_mul_f64 v[66:67], v[54:55], v[48:49]
	;; [unrolled: 1-line block ×3, first 2 shown]
	v_fma_f64 v[28:29], -v[28:29], v[60:61], v[64:65]
	v_fma_f64 v[38:39], -v[38:39], v[66:67], v[54:55]
	;; [unrolled: 1-line block ×3, first 2 shown]
	v_div_fmas_f64 v[28:29], v[28:29], v[46:47], v[60:61]
	s_mov_b32 vcc_lo, s1
	v_div_fmas_f64 v[38:39], v[38:39], v[48:49], v[66:67]
	s_mov_b32 vcc_lo, s2
	;; [unrolled: 2-line block ×4, first 2 shown]
	s_mov_b32 s0, 0xe2308c3a
	s_mov_b32 s1, 0x3e45798e
	v_div_fixup_f64 v[24:25], v[40:41], v[62:63], v[24:25]
	v_div_fixup_f64 v[18:19], v[42:43], v[18:19], v[86:87]
	v_add_f64 v[24:25], v[24:25], -v[44:45]
	v_mul_f64 v[0:1], v[18:19], v[0:1]
	v_mul_f64 v[40:41], v[18:19], v[24:25]
	v_fma_f64 v[8:9], v[24:25], v[16:17], v[8:9]
	v_mul_f64 v[16:17], v[16:17], v[40:41]
	v_fma_f64 v[6:7], v[76:77], v[8:9], -v[6:7]
	v_div_fmas_f64 v[8:9], v[34:35], v[22:23], v[30:31]
	v_fma_f64 v[0:1], v[0:1], v[32:33], v[16:17]
	v_mul_f64 v[6:7], v[18:19], v[6:7]
	v_fma_f64 v[0:1], v[76:77], -v[0:1], -v[6:7]
	s_clause 0x1
	buffer_load_dword v6, off, s[56:59], 0 offset:72
	buffer_load_dword v7, off, s[56:59], 0 offset:76
	v_fma_f64 v[0:1], v[18:19], v[10:11], v[0:1]
	s_waitcnt vmcnt(0)
	v_div_fixup_f64 v[6:7], v[8:9], v[26:27], v[6:7]
	v_mul_f64 v[8:9], v[90:91], v[12:13]
	v_fma_f64 v[0:1], v[6:7], v[18:19], v[0:1]
	v_div_fixup_f64 v[6:7], v[38:39], v[20:21], v[86:87]
	v_fma_f64 v[0:1], v[8:9], v[18:19], v[0:1]
	v_fma_f64 v[0:1], v[114:115], v[6:7], v[0:1]
	v_mul_f64 v[0:1], v[14:15], v[0:1]
	v_div_scale_f64 v[6:7], null, v[84:85], v[84:85], v[0:1]
	v_rcp_f64_e32 v[8:9], v[6:7]
	v_fma_f64 v[10:11], -v[6:7], v[8:9], 1.0
	v_fma_f64 v[8:9], v[8:9], v[10:11], v[8:9]
	v_fma_f64 v[10:11], -v[6:7], v[8:9], 1.0
	v_fma_f64 v[8:9], v[8:9], v[10:11], v[8:9]
	v_div_scale_f64 v[10:11], vcc_lo, v[0:1], v[84:85], v[0:1]
	v_mul_f64 v[12:13], v[10:11], v[8:9]
	v_fma_f64 v[6:7], -v[6:7], v[12:13], v[10:11]
	v_div_fmas_f64 v[6:7], v[6:7], v[8:9], v[12:13]
	v_div_fixup_f64 v[0:1], v[6:7], v[84:85], v[0:1]
	v_add_f64 v[6:7], v[2:3], v[36:37]
	v_div_fixup_f64 v[2:3], v[28:29], v[84:85], v[4:5]
	s_clause 0x1
	buffer_load_dword v4, off, s[56:59], 0 offset:144
	buffer_load_dword v5, off, s[56:59], 0 offset:148
	v_cmp_ngt_f64_e64 s0, |v[0:1]|, s[0:1]
	s_waitcnt vmcnt(0)
	global_store_dwordx2 v[4:5], v[6:7], off
                                        ; implicit-def: $vgpr4_vgpr5
	s_and_saveexec_b32 s1, s0
	s_xor_b32 s0, exec_lo, s1
; %bb.82:
	v_mul_f64 v[4:5], s[12:13], v[2:3]
                                        ; implicit-def: $vgpr0_vgpr1
                                        ; implicit-def: $vgpr2_vgpr3
; %bb.83:
	s_andn2_saveexec_b32 s1, s0
	s_cbranch_execz .LBB0_85
; %bb.84:
	v_mul_f64 v[4:5], s[12:13], v[0:1]
	s_mov_b32 s2, 0x652b82fe
	s_mov_b32 s3, 0x3ff71547
	;; [unrolled: 1-line block ×4, first 2 shown]
	v_mul_f64 v[6:7], v[4:5], s[2:3]
	s_mov_b32 s2, 0xfefa39ef
	s_mov_b32 s3, 0xbfe62e42
	v_cmp_nlt_f64_e32 vcc_lo, 0x40900000, v[4:5]
	v_cmp_ngt_f64_e64 s0, 0xc090cc00, v[4:5]
	v_rndne_f64_e32 v[6:7], v[6:7]
	v_fma_f64 v[8:9], v[6:7], s[2:3], v[4:5]
	s_mov_b32 s2, 0x3b39803f
	s_mov_b32 s3, 0xbc7abc9e
	v_cvt_i32_f64_e32 v12, v[6:7]
	v_fma_f64 v[8:9], v[6:7], s[2:3], v[8:9]
	s_mov_b32 s2, 0xfca7ab0c
	s_mov_b32 s3, 0x3e928af3
	v_fma_f64 v[10:11], v[8:9], s[4:5], s[2:3]
	s_mov_b32 s2, 0x623fde64
	s_mov_b32 s3, 0x3ec71dee
	v_fma_f64 v[10:11], v[8:9], v[10:11], s[2:3]
	s_mov_b32 s2, 0x7c89e6b0
	s_mov_b32 s3, 0x3efa0199
	v_fma_f64 v[10:11], v[8:9], v[10:11], s[2:3]
	s_mov_b32 s2, 0x14761f6e
	s_mov_b32 s3, 0x3f2a01a0
	v_fma_f64 v[10:11], v[8:9], v[10:11], s[2:3]
	s_mov_b32 s2, 0x1852b7b0
	s_mov_b32 s3, 0x3f56c16c
	v_fma_f64 v[10:11], v[8:9], v[10:11], s[2:3]
	s_mov_b32 s2, 0x11122322
	s_mov_b32 s3, 0x3f811111
	v_fma_f64 v[10:11], v[8:9], v[10:11], s[2:3]
	s_mov_b32 s2, 0x555502a1
	s_mov_b32 s3, 0x3fa55555
	v_fma_f64 v[10:11], v[8:9], v[10:11], s[2:3]
	s_mov_b32 s2, 0x55555511
	s_mov_b32 s3, 0x3fc55555
	v_fma_f64 v[10:11], v[8:9], v[10:11], s[2:3]
	s_mov_b32 s2, 11
	s_mov_b32 s3, 0x3fe00000
	v_fma_f64 v[10:11], v[8:9], v[10:11], s[2:3]
	v_fma_f64 v[10:11], v[8:9], v[10:11], 1.0
	v_fma_f64 v[6:7], v[8:9], v[10:11], 1.0
	v_ldexp_f64 v[6:7], v[6:7], v12
	v_add_f64 v[6:7], v[6:7], -1.0
	v_cndmask_b32_e32 v7, 0x7ff00000, v7, vcc_lo
	s_and_b32 vcc_lo, s0, vcc_lo
	v_cndmask_b32_e32 v4, 0, v6, vcc_lo
	v_cndmask_b32_e64 v5, 0xbff00000, v7, s0
	v_mul_f64 v[2:3], v[2:3], v[4:5]
	v_div_scale_f64 v[4:5], null, v[0:1], v[0:1], v[2:3]
	v_rcp_f64_e32 v[6:7], v[4:5]
	v_fma_f64 v[8:9], -v[4:5], v[6:7], 1.0
	v_fma_f64 v[6:7], v[6:7], v[8:9], v[6:7]
	v_fma_f64 v[8:9], -v[4:5], v[6:7], 1.0
	v_fma_f64 v[6:7], v[6:7], v[8:9], v[6:7]
	v_div_scale_f64 v[8:9], vcc_lo, v[2:3], v[0:1], v[2:3]
	v_mul_f64 v[10:11], v[8:9], v[6:7]
	v_fma_f64 v[4:5], -v[4:5], v[10:11], v[8:9]
	v_div_fmas_f64 v[4:5], v[4:5], v[6:7], v[10:11]
	v_div_fixup_f64 v[4:5], v[4:5], v[0:1], v[2:3]
.LBB0_85:
	s_or_b32 exec_lo, exec_lo, s1
	s_clause 0x3
	buffer_load_dword v0, off, s[56:59], 0 offset:8
	buffer_load_dword v1, off, s[56:59], 0 offset:12
	;; [unrolled: 1-line block ×4, first 2 shown]
	s_waitcnt vmcnt(2)
	v_add_f64 v[0:1], v[0:1], v[4:5]
	s_waitcnt vmcnt(0)
	global_store_dwordx2 v[2:3], v[0:1], off
.LBB0_86:
	s_endpgm
	.section	.rodata,"a",@progbits
	.p2align	6, 0x0
	.amdhsa_kernel _Z21k_forward_rush_larsenPdddPKdi
		.amdhsa_group_segment_fixed_size 0
		.amdhsa_private_segment_fixed_size 452
		.amdhsa_kernarg_size 296
		.amdhsa_user_sgpr_count 6
		.amdhsa_user_sgpr_private_segment_buffer 1
		.amdhsa_user_sgpr_dispatch_ptr 0
		.amdhsa_user_sgpr_queue_ptr 0
		.amdhsa_user_sgpr_kernarg_segment_ptr 1
		.amdhsa_user_sgpr_dispatch_id 0
		.amdhsa_user_sgpr_flat_scratch_init 0
		.amdhsa_user_sgpr_private_segment_size 0
		.amdhsa_wavefront_size32 1
		.amdhsa_uses_dynamic_stack 0
		.amdhsa_system_sgpr_private_segment_wavefront_offset 1
		.amdhsa_system_sgpr_workgroup_id_x 1
		.amdhsa_system_sgpr_workgroup_id_y 0
		.amdhsa_system_sgpr_workgroup_id_z 0
		.amdhsa_system_sgpr_workgroup_info 0
		.amdhsa_system_vgpr_workitem_id 0
		.amdhsa_next_free_vgpr 128
		.amdhsa_next_free_sgpr 60
		.amdhsa_reserve_vcc 1
		.amdhsa_reserve_flat_scratch 0
		.amdhsa_float_round_mode_32 0
		.amdhsa_float_round_mode_16_64 0
		.amdhsa_float_denorm_mode_32 3
		.amdhsa_float_denorm_mode_16_64 3
		.amdhsa_dx10_clamp 1
		.amdhsa_ieee_mode 1
		.amdhsa_fp16_overflow 0
		.amdhsa_workgroup_processor_mode 1
		.amdhsa_memory_ordered 1
		.amdhsa_forward_progress 1
		.amdhsa_shared_vgpr_count 0
		.amdhsa_exception_fp_ieee_invalid_op 0
		.amdhsa_exception_fp_denorm_src 0
		.amdhsa_exception_fp_ieee_div_zero 0
		.amdhsa_exception_fp_ieee_overflow 0
		.amdhsa_exception_fp_ieee_underflow 0
		.amdhsa_exception_fp_ieee_inexact 0
		.amdhsa_exception_int_div_zero 0
	.end_amdhsa_kernel
	.text
.Lfunc_end0:
	.size	_Z21k_forward_rush_larsenPdddPKdi, .Lfunc_end0-_Z21k_forward_rush_larsenPdddPKdi
                                        ; -- End function
	.set _Z21k_forward_rush_larsenPdddPKdi.num_vgpr, 128
	.set _Z21k_forward_rush_larsenPdddPKdi.num_agpr, 0
	.set _Z21k_forward_rush_larsenPdddPKdi.numbered_sgpr, 60
	.set _Z21k_forward_rush_larsenPdddPKdi.num_named_barrier, 0
	.set _Z21k_forward_rush_larsenPdddPKdi.private_seg_size, 452
	.set _Z21k_forward_rush_larsenPdddPKdi.uses_vcc, 1
	.set _Z21k_forward_rush_larsenPdddPKdi.uses_flat_scratch, 0
	.set _Z21k_forward_rush_larsenPdddPKdi.has_dyn_sized_stack, 0
	.set _Z21k_forward_rush_larsenPdddPKdi.has_recursion, 0
	.set _Z21k_forward_rush_larsenPdddPKdi.has_indirect_call, 0
	.section	.AMDGPU.csdata,"",@progbits
; Kernel info:
; codeLenInByte = 52028
; TotalNumSgprs: 62
; NumVgprs: 128
; ScratchSize: 452
; MemoryBound: 0
; FloatMode: 240
; IeeeMode: 1
; LDSByteSize: 0 bytes/workgroup (compile time only)
; SGPRBlocks: 0
; VGPRBlocks: 15
; NumSGPRsForWavesPerEU: 62
; NumVGPRsForWavesPerEU: 128
; Occupancy: 8
; WaveLimiterHint : 0
; COMPUTE_PGM_RSRC2:SCRATCH_EN: 1
; COMPUTE_PGM_RSRC2:USER_SGPR: 6
; COMPUTE_PGM_RSRC2:TRAP_HANDLER: 0
; COMPUTE_PGM_RSRC2:TGID_X_EN: 1
; COMPUTE_PGM_RSRC2:TGID_Y_EN: 0
; COMPUTE_PGM_RSRC2:TGID_Z_EN: 0
; COMPUTE_PGM_RSRC2:TIDIG_COMP_CNT: 0
	.text
	.p2alignl 6, 3214868480
	.fill 48, 4, 3214868480
	.section	.AMDGPU.gpr_maximums,"",@progbits
	.set amdgpu.max_num_vgpr, 0
	.set amdgpu.max_num_agpr, 0
	.set amdgpu.max_num_sgpr, 0
	.text
	.type	__hip_cuid_b37163b20ed74281,@object ; @__hip_cuid_b37163b20ed74281
	.section	.bss,"aw",@nobits
	.globl	__hip_cuid_b37163b20ed74281
__hip_cuid_b37163b20ed74281:
	.byte	0                               ; 0x0
	.size	__hip_cuid_b37163b20ed74281, 1

	.ident	"AMD clang version 22.0.0git (https://github.com/RadeonOpenCompute/llvm-project roc-7.2.4 26084 f58b06dce1f9c15707c5f808fd002e18c2accf7e)"
	.section	".note.GNU-stack","",@progbits
	.addrsig
	.addrsig_sym __hip_cuid_b37163b20ed74281
	.amdgpu_metadata
---
amdhsa.kernels:
  - .args:
      - .address_space:  global
        .offset:         0
        .size:           8
        .value_kind:     global_buffer
      - .offset:         8
        .size:           8
        .value_kind:     by_value
      - .offset:         16
        .size:           8
        .value_kind:     by_value
      - .address_space:  global
        .offset:         24
        .size:           8
        .value_kind:     global_buffer
      - .offset:         32
        .size:           4
        .value_kind:     by_value
      - .offset:         40
        .size:           4
        .value_kind:     hidden_block_count_x
      - .offset:         44
        .size:           4
        .value_kind:     hidden_block_count_y
      - .offset:         48
        .size:           4
        .value_kind:     hidden_block_count_z
      - .offset:         52
        .size:           2
        .value_kind:     hidden_group_size_x
      - .offset:         54
        .size:           2
        .value_kind:     hidden_group_size_y
      - .offset:         56
        .size:           2
        .value_kind:     hidden_group_size_z
      - .offset:         58
        .size:           2
        .value_kind:     hidden_remainder_x
      - .offset:         60
        .size:           2
        .value_kind:     hidden_remainder_y
      - .offset:         62
        .size:           2
        .value_kind:     hidden_remainder_z
      - .offset:         80
        .size:           8
        .value_kind:     hidden_global_offset_x
      - .offset:         88
        .size:           8
        .value_kind:     hidden_global_offset_y
      - .offset:         96
        .size:           8
        .value_kind:     hidden_global_offset_z
      - .offset:         104
        .size:           2
        .value_kind:     hidden_grid_dims
    .group_segment_fixed_size: 0
    .kernarg_segment_align: 8
    .kernarg_segment_size: 296
    .language:       OpenCL C
    .language_version:
      - 2
      - 0
    .max_flat_workgroup_size: 1024
    .name:           _Z21k_forward_rush_larsenPdddPKdi
    .private_segment_fixed_size: 452
    .sgpr_count:     62
    .sgpr_spill_count: 0
    .symbol:         _Z21k_forward_rush_larsenPdddPKdi.kd
    .uniform_work_group_size: 1
    .uses_dynamic_stack: false
    .vgpr_count:     128
    .vgpr_spill_count: 148
    .wavefront_size: 32
    .workgroup_processor_mode: 1
amdhsa.target:   amdgcn-amd-amdhsa--gfx1030
amdhsa.version:
  - 1
  - 2
...

	.end_amdgpu_metadata
